;; amdgpu-corpus repo=ROCm/hip-tests kind=compiled arch=gfx1250 opt=O3
	.amdgcn_target "amdgcn-amd-amdhsa--gfx1250"
	.amdhsa_code_object_version 6
	.section	.text._Z17testOperationsGPUI15HIP_vector_typeIdLj1EES1_EvPT_S3_i,"axG",@progbits,_Z17testOperationsGPUI15HIP_vector_typeIdLj1EES1_EvPT_S3_i,comdat
	.protected	_Z17testOperationsGPUI15HIP_vector_typeIdLj1EES1_EvPT_S3_i ; -- Begin function _Z17testOperationsGPUI15HIP_vector_typeIdLj1EES1_EvPT_S3_i
	.globl	_Z17testOperationsGPUI15HIP_vector_typeIdLj1EES1_EvPT_S3_i
	.p2align	8
	.type	_Z17testOperationsGPUI15HIP_vector_typeIdLj1EES1_EvPT_S3_i,@function
_Z17testOperationsGPUI15HIP_vector_typeIdLj1EES1_EvPT_S3_i: ; @_Z17testOperationsGPUI15HIP_vector_typeIdLj1EES1_EvPT_S3_i
; %bb.0:
	s_load_b32 s2, s[0:1], 0x10
	s_wait_kmcnt 0x0
	v_cmp_ge_i32_e32 vcc_lo, s2, v0
	s_and_saveexec_b32 s2, vcc_lo
	s_cbranch_execz .LBB0_2
; %bb.1:
	s_load_b128 s[0:3], s[0:1], 0x0
	s_wait_kmcnt 0x0
	s_clause 0x1
	global_load_b64 v[2:3], v0, s[2:3] scale_offset
	global_load_b64 v[4:5], v0, s[0:1] scale_offset
	s_wait_loadcnt 0x0
	v_add_f64_e32 v[2:3], v[2:3], v[4:5]
	s_delay_alu instid0(VALU_DEP_1)
	v_add_f64_e32 v[2:3], 1.0, v[2:3]
	s_clause 0x1
	global_store_b64 v0, v[2:3], s[0:1] scale_offset
	global_load_b64 v[2:3], v0, s[2:3] scale_offset
	s_wait_loadcnt 0x0
	v_add_f64_e32 v[2:3], 1.0, v[2:3]
	global_store_b64 v0, v[2:3], s[2:3] scale_offset
.LBB0_2:
	s_endpgm
	.section	.rodata,"a",@progbits
	.p2align	6, 0x0
	.amdhsa_kernel _Z17testOperationsGPUI15HIP_vector_typeIdLj1EES1_EvPT_S3_i
		.amdhsa_group_segment_fixed_size 0
		.amdhsa_private_segment_fixed_size 0
		.amdhsa_kernarg_size 20
		.amdhsa_user_sgpr_count 2
		.amdhsa_user_sgpr_dispatch_ptr 0
		.amdhsa_user_sgpr_queue_ptr 0
		.amdhsa_user_sgpr_kernarg_segment_ptr 1
		.amdhsa_user_sgpr_dispatch_id 0
		.amdhsa_user_sgpr_kernarg_preload_length 0
		.amdhsa_user_sgpr_kernarg_preload_offset 0
		.amdhsa_user_sgpr_private_segment_size 0
		.amdhsa_wavefront_size32 1
		.amdhsa_uses_dynamic_stack 0
		.amdhsa_enable_private_segment 0
		.amdhsa_system_sgpr_workgroup_id_x 1
		.amdhsa_system_sgpr_workgroup_id_y 0
		.amdhsa_system_sgpr_workgroup_id_z 0
		.amdhsa_system_sgpr_workgroup_info 0
		.amdhsa_system_vgpr_workitem_id 0
		.amdhsa_next_free_vgpr 6
		.amdhsa_next_free_sgpr 4
		.amdhsa_named_barrier_count 0
		.amdhsa_reserve_vcc 1
		.amdhsa_float_round_mode_32 0
		.amdhsa_float_round_mode_16_64 0
		.amdhsa_float_denorm_mode_32 3
		.amdhsa_float_denorm_mode_16_64 3
		.amdhsa_fp16_overflow 0
		.amdhsa_memory_ordered 1
		.amdhsa_forward_progress 1
		.amdhsa_inst_pref_size 2
		.amdhsa_round_robin_scheduling 0
		.amdhsa_exception_fp_ieee_invalid_op 0
		.amdhsa_exception_fp_denorm_src 0
		.amdhsa_exception_fp_ieee_div_zero 0
		.amdhsa_exception_fp_ieee_overflow 0
		.amdhsa_exception_fp_ieee_underflow 0
		.amdhsa_exception_fp_ieee_inexact 0
		.amdhsa_exception_int_div_zero 0
	.end_amdhsa_kernel
	.section	.text._Z17testOperationsGPUI15HIP_vector_typeIdLj1EES1_EvPT_S3_i,"axG",@progbits,_Z17testOperationsGPUI15HIP_vector_typeIdLj1EES1_EvPT_S3_i,comdat
.Lfunc_end0:
	.size	_Z17testOperationsGPUI15HIP_vector_typeIdLj1EES1_EvPT_S3_i, .Lfunc_end0-_Z17testOperationsGPUI15HIP_vector_typeIdLj1EES1_EvPT_S3_i
                                        ; -- End function
	.set _Z17testOperationsGPUI15HIP_vector_typeIdLj1EES1_EvPT_S3_i.num_vgpr, 6
	.set _Z17testOperationsGPUI15HIP_vector_typeIdLj1EES1_EvPT_S3_i.num_agpr, 0
	.set _Z17testOperationsGPUI15HIP_vector_typeIdLj1EES1_EvPT_S3_i.numbered_sgpr, 4
	.set _Z17testOperationsGPUI15HIP_vector_typeIdLj1EES1_EvPT_S3_i.num_named_barrier, 0
	.set _Z17testOperationsGPUI15HIP_vector_typeIdLj1EES1_EvPT_S3_i.private_seg_size, 0
	.set _Z17testOperationsGPUI15HIP_vector_typeIdLj1EES1_EvPT_S3_i.uses_vcc, 1
	.set _Z17testOperationsGPUI15HIP_vector_typeIdLj1EES1_EvPT_S3_i.uses_flat_scratch, 0
	.set _Z17testOperationsGPUI15HIP_vector_typeIdLj1EES1_EvPT_S3_i.has_dyn_sized_stack, 0
	.set _Z17testOperationsGPUI15HIP_vector_typeIdLj1EES1_EvPT_S3_i.has_recursion, 0
	.set _Z17testOperationsGPUI15HIP_vector_typeIdLj1EES1_EvPT_S3_i.has_indirect_call, 0
	.section	.AMDGPU.csdata,"",@progbits
; Kernel info:
; codeLenInByte = 132
; TotalNumSgprs: 6
; NumVgprs: 6
; ScratchSize: 0
; MemoryBound: 0
; FloatMode: 240
; IeeeMode: 1
; LDSByteSize: 0 bytes/workgroup (compile time only)
; SGPRBlocks: 0
; VGPRBlocks: 0
; NumSGPRsForWavesPerEU: 6
; NumVGPRsForWavesPerEU: 6
; NamedBarCnt: 0
; Occupancy: 16
; WaveLimiterHint : 0
; COMPUTE_PGM_RSRC2:SCRATCH_EN: 0
; COMPUTE_PGM_RSRC2:USER_SGPR: 2
; COMPUTE_PGM_RSRC2:TRAP_HANDLER: 0
; COMPUTE_PGM_RSRC2:TGID_X_EN: 1
; COMPUTE_PGM_RSRC2:TGID_Y_EN: 0
; COMPUTE_PGM_RSRC2:TGID_Z_EN: 0
; COMPUTE_PGM_RSRC2:TIDIG_COMP_CNT: 0
	.section	.text._Z17testOperationsGPUI15HIP_vector_typeIdLj2EES0_IdLj1EEEvPT_S4_i,"axG",@progbits,_Z17testOperationsGPUI15HIP_vector_typeIdLj2EES0_IdLj1EEEvPT_S4_i,comdat
	.protected	_Z17testOperationsGPUI15HIP_vector_typeIdLj2EES0_IdLj1EEEvPT_S4_i ; -- Begin function _Z17testOperationsGPUI15HIP_vector_typeIdLj2EES0_IdLj1EEEvPT_S4_i
	.globl	_Z17testOperationsGPUI15HIP_vector_typeIdLj2EES0_IdLj1EEEvPT_S4_i
	.p2align	8
	.type	_Z17testOperationsGPUI15HIP_vector_typeIdLj2EES0_IdLj1EEEvPT_S4_i,@function
_Z17testOperationsGPUI15HIP_vector_typeIdLj2EES0_IdLj1EEEvPT_S4_i: ; @_Z17testOperationsGPUI15HIP_vector_typeIdLj2EES0_IdLj1EEEvPT_S4_i
; %bb.0:
	s_load_b32 s2, s[0:1], 0x10
	s_wait_kmcnt 0x0
	v_cmp_ge_i32_e32 vcc_lo, s2, v0
	s_and_saveexec_b32 s2, vcc_lo
	s_cbranch_execz .LBB1_2
; %bb.1:
	s_load_b128 s[0:3], s[0:1], 0x0
	v_lshlrev_b32_e32 v4, 4, v0
	s_wait_kmcnt 0x0
	s_clause 0x1
	global_load_b64 v[0:1], v4, s[2:3]
	global_load_b64 v[2:3], v4, s[0:1]
	s_wait_loadcnt 0x0
	v_add_f64_e32 v[0:1], v[0:1], v[2:3]
	s_delay_alu instid0(VALU_DEP_1)
	v_add_f64_e32 v[0:1], 1.0, v[0:1]
	s_clause 0x1
	global_store_b64 v4, v[0:1], s[0:1]
	global_load_b64 v[0:1], v4, s[2:3]
	s_wait_loadcnt 0x0
	v_add_f64_e32 v[0:1], 1.0, v[0:1]
	s_clause 0x2
	global_store_b64 v4, v[0:1], s[0:1] offset:8
	global_load_b64 v[2:3], v4, s[2:3] offset:8
	global_store_b64 v4, v[0:1], s[2:3]
	s_wait_loadcnt 0x0
	global_store_b64 v4, v[2:3], s[0:1]
.LBB1_2:
	s_endpgm
	.section	.rodata,"a",@progbits
	.p2align	6, 0x0
	.amdhsa_kernel _Z17testOperationsGPUI15HIP_vector_typeIdLj2EES0_IdLj1EEEvPT_S4_i
		.amdhsa_group_segment_fixed_size 0
		.amdhsa_private_segment_fixed_size 0
		.amdhsa_kernarg_size 20
		.amdhsa_user_sgpr_count 2
		.amdhsa_user_sgpr_dispatch_ptr 0
		.amdhsa_user_sgpr_queue_ptr 0
		.amdhsa_user_sgpr_kernarg_segment_ptr 1
		.amdhsa_user_sgpr_dispatch_id 0
		.amdhsa_user_sgpr_kernarg_preload_length 0
		.amdhsa_user_sgpr_kernarg_preload_offset 0
		.amdhsa_user_sgpr_private_segment_size 0
		.amdhsa_wavefront_size32 1
		.amdhsa_uses_dynamic_stack 0
		.amdhsa_enable_private_segment 0
		.amdhsa_system_sgpr_workgroup_id_x 1
		.amdhsa_system_sgpr_workgroup_id_y 0
		.amdhsa_system_sgpr_workgroup_id_z 0
		.amdhsa_system_sgpr_workgroup_info 0
		.amdhsa_system_vgpr_workitem_id 0
		.amdhsa_next_free_vgpr 5
		.amdhsa_next_free_sgpr 4
		.amdhsa_named_barrier_count 0
		.amdhsa_reserve_vcc 1
		.amdhsa_float_round_mode_32 0
		.amdhsa_float_round_mode_16_64 0
		.amdhsa_float_denorm_mode_32 3
		.amdhsa_float_denorm_mode_16_64 3
		.amdhsa_fp16_overflow 0
		.amdhsa_memory_ordered 1
		.amdhsa_forward_progress 1
		.amdhsa_inst_pref_size 2
		.amdhsa_round_robin_scheduling 0
		.amdhsa_exception_fp_ieee_invalid_op 0
		.amdhsa_exception_fp_denorm_src 0
		.amdhsa_exception_fp_ieee_div_zero 0
		.amdhsa_exception_fp_ieee_overflow 0
		.amdhsa_exception_fp_ieee_underflow 0
		.amdhsa_exception_fp_ieee_inexact 0
		.amdhsa_exception_int_div_zero 0
	.end_amdhsa_kernel
	.section	.text._Z17testOperationsGPUI15HIP_vector_typeIdLj2EES0_IdLj1EEEvPT_S4_i,"axG",@progbits,_Z17testOperationsGPUI15HIP_vector_typeIdLj2EES0_IdLj1EEEvPT_S4_i,comdat
.Lfunc_end1:
	.size	_Z17testOperationsGPUI15HIP_vector_typeIdLj2EES0_IdLj1EEEvPT_S4_i, .Lfunc_end1-_Z17testOperationsGPUI15HIP_vector_typeIdLj2EES0_IdLj1EEEvPT_S4_i
                                        ; -- End function
	.set _Z17testOperationsGPUI15HIP_vector_typeIdLj2EES0_IdLj1EEEvPT_S4_i.num_vgpr, 5
	.set _Z17testOperationsGPUI15HIP_vector_typeIdLj2EES0_IdLj1EEEvPT_S4_i.num_agpr, 0
	.set _Z17testOperationsGPUI15HIP_vector_typeIdLj2EES0_IdLj1EEEvPT_S4_i.numbered_sgpr, 4
	.set _Z17testOperationsGPUI15HIP_vector_typeIdLj2EES0_IdLj1EEEvPT_S4_i.num_named_barrier, 0
	.set _Z17testOperationsGPUI15HIP_vector_typeIdLj2EES0_IdLj1EEEvPT_S4_i.private_seg_size, 0
	.set _Z17testOperationsGPUI15HIP_vector_typeIdLj2EES0_IdLj1EEEvPT_S4_i.uses_vcc, 1
	.set _Z17testOperationsGPUI15HIP_vector_typeIdLj2EES0_IdLj1EEEvPT_S4_i.uses_flat_scratch, 0
	.set _Z17testOperationsGPUI15HIP_vector_typeIdLj2EES0_IdLj1EEEvPT_S4_i.has_dyn_sized_stack, 0
	.set _Z17testOperationsGPUI15HIP_vector_typeIdLj2EES0_IdLj1EEEvPT_S4_i.has_recursion, 0
	.set _Z17testOperationsGPUI15HIP_vector_typeIdLj2EES0_IdLj1EEEvPT_S4_i.has_indirect_call, 0
	.section	.AMDGPU.csdata,"",@progbits
; Kernel info:
; codeLenInByte = 180
; TotalNumSgprs: 6
; NumVgprs: 5
; ScratchSize: 0
; MemoryBound: 1
; FloatMode: 240
; IeeeMode: 1
; LDSByteSize: 0 bytes/workgroup (compile time only)
; SGPRBlocks: 0
; VGPRBlocks: 0
; NumSGPRsForWavesPerEU: 6
; NumVGPRsForWavesPerEU: 5
; NamedBarCnt: 0
; Occupancy: 16
; WaveLimiterHint : 1
; COMPUTE_PGM_RSRC2:SCRATCH_EN: 0
; COMPUTE_PGM_RSRC2:USER_SGPR: 2
; COMPUTE_PGM_RSRC2:TRAP_HANDLER: 0
; COMPUTE_PGM_RSRC2:TGID_X_EN: 1
; COMPUTE_PGM_RSRC2:TGID_Y_EN: 0
; COMPUTE_PGM_RSRC2:TGID_Z_EN: 0
; COMPUTE_PGM_RSRC2:TIDIG_COMP_CNT: 0
	.section	.text._Z17testOperationsGPUI15HIP_vector_typeIdLj3EES0_IdLj1EEEvPT_S4_i,"axG",@progbits,_Z17testOperationsGPUI15HIP_vector_typeIdLj3EES0_IdLj1EEEvPT_S4_i,comdat
	.protected	_Z17testOperationsGPUI15HIP_vector_typeIdLj3EES0_IdLj1EEEvPT_S4_i ; -- Begin function _Z17testOperationsGPUI15HIP_vector_typeIdLj3EES0_IdLj1EEEvPT_S4_i
	.globl	_Z17testOperationsGPUI15HIP_vector_typeIdLj3EES0_IdLj1EEEvPT_S4_i
	.p2align	8
	.type	_Z17testOperationsGPUI15HIP_vector_typeIdLj3EES0_IdLj1EEEvPT_S4_i,@function
_Z17testOperationsGPUI15HIP_vector_typeIdLj3EES0_IdLj1EEEvPT_S4_i: ; @_Z17testOperationsGPUI15HIP_vector_typeIdLj3EES0_IdLj1EEEvPT_S4_i
; %bb.0:
	s_load_b32 s2, s[0:1], 0x10
	s_wait_kmcnt 0x0
	v_cmp_ge_i32_e32 vcc_lo, s2, v0
	s_and_saveexec_b32 s2, vcc_lo
	s_cbranch_execz .LBB2_4
; %bb.1:
	s_load_b128 s[0:3], s[0:1], 0x0
	s_wait_kmcnt 0x0
	v_mad_nc_u64_u32 v[2:3], v0, 24, s[2:3]
	v_mad_nc_u64_u32 v[0:1], v0, 24, s[0:1]
	s_mov_b32 s0, exec_lo
	global_load_b64 v[4:5], v[2:3], off
	global_load_b64 v[6:7], v[0:1], off
	s_wait_loadcnt 0x0
	v_add_f64_e32 v[4:5], v[4:5], v[6:7]
	s_delay_alu instid0(VALU_DEP_1)
	v_add_f64_e32 v[4:5], 1.0, v[4:5]
	global_store_b64 v[0:1], v[4:5], off
	global_load_b64 v[4:5], v[2:3], off
	s_wait_loadcnt 0x0
	v_add_f64_e32 v[4:5], 1.0, v[4:5]
	global_store_b64 v[0:1], v[4:5], off offset:8
	s_clause 0x1
	global_load_b64 v[6:7], v[2:3], off offset:8
	global_store_b64 v[2:3], v[4:5], off
	s_wait_loadcnt 0x0
	global_store_b64 v[0:1], v[6:7], off
	s_wait_xcnt 0x0
	v_cmpx_lt_f64_e32 0, v[6:7]
	s_cbranch_execz .LBB2_3
; %bb.2:
	global_load_b64 v[8:9], v[2:3], off
	s_wait_loadcnt 0x0
	v_div_scale_f64 v[10:11], null, v[6:7], v[6:7], v[8:9]
	s_delay_alu instid0(VALU_DEP_1) | instskip(SKIP_1) | instid1(TRANS32_DEP_1)
	v_rcp_f64_e32 v[12:13], v[10:11]
	v_nop
	v_fma_f64 v[14:15], -v[10:11], v[12:13], 1.0
	s_delay_alu instid0(VALU_DEP_1) | instskip(NEXT) | instid1(VALU_DEP_1)
	v_fmac_f64_e32 v[12:13], v[12:13], v[14:15]
	v_fma_f64 v[14:15], -v[10:11], v[12:13], 1.0
	s_delay_alu instid0(VALU_DEP_1) | instskip(SKIP_1) | instid1(VALU_DEP_1)
	v_fmac_f64_e32 v[12:13], v[12:13], v[14:15]
	v_div_scale_f64 v[14:15], vcc_lo, v[8:9], v[6:7], v[8:9]
	v_mul_f64_e32 v[16:17], v[14:15], v[12:13]
	s_delay_alu instid0(VALU_DEP_1) | instskip(NEXT) | instid1(VALU_DEP_1)
	v_fma_f64 v[10:11], -v[10:11], v[16:17], v[14:15]
	v_div_fmas_f64 v[10:11], v[10:11], v[12:13], v[16:17]
	s_delay_alu instid0(VALU_DEP_1)
	v_div_fixup_f64 v[6:7], v[10:11], v[6:7], v[8:9]
	global_store_b64 v[2:3], v[6:7], off
	global_load_b64 v[6:7], v[0:1], off
.LBB2_3:
	s_wait_xcnt 0x0
	s_or_b32 exec_lo, exec_lo, s0
	global_load_b64 v[2:3], v[2:3], off offset:16
	v_add_f64_e32 v[4:5], -1.0, v[4:5]
	s_wait_loadcnt 0x0
	v_mul_f64_e32 v[2:3], v[6:7], v[2:3]
	global_store_b128 v[0:1], v[2:5], off
.LBB2_4:
	s_endpgm
	.section	.rodata,"a",@progbits
	.p2align	6, 0x0
	.amdhsa_kernel _Z17testOperationsGPUI15HIP_vector_typeIdLj3EES0_IdLj1EEEvPT_S4_i
		.amdhsa_group_segment_fixed_size 0
		.amdhsa_private_segment_fixed_size 0
		.amdhsa_kernarg_size 20
		.amdhsa_user_sgpr_count 2
		.amdhsa_user_sgpr_dispatch_ptr 0
		.amdhsa_user_sgpr_queue_ptr 0
		.amdhsa_user_sgpr_kernarg_segment_ptr 1
		.amdhsa_user_sgpr_dispatch_id 0
		.amdhsa_user_sgpr_kernarg_preload_length 0
		.amdhsa_user_sgpr_kernarg_preload_offset 0
		.amdhsa_user_sgpr_private_segment_size 0
		.amdhsa_wavefront_size32 1
		.amdhsa_uses_dynamic_stack 0
		.amdhsa_enable_private_segment 0
		.amdhsa_system_sgpr_workgroup_id_x 1
		.amdhsa_system_sgpr_workgroup_id_y 0
		.amdhsa_system_sgpr_workgroup_id_z 0
		.amdhsa_system_sgpr_workgroup_info 0
		.amdhsa_system_vgpr_workitem_id 0
		.amdhsa_next_free_vgpr 18
		.amdhsa_next_free_sgpr 4
		.amdhsa_named_barrier_count 0
		.amdhsa_reserve_vcc 1
		.amdhsa_float_round_mode_32 0
		.amdhsa_float_round_mode_16_64 0
		.amdhsa_float_denorm_mode_32 3
		.amdhsa_float_denorm_mode_16_64 3
		.amdhsa_fp16_overflow 0
		.amdhsa_memory_ordered 1
		.amdhsa_forward_progress 1
		.amdhsa_inst_pref_size 3
		.amdhsa_round_robin_scheduling 0
		.amdhsa_exception_fp_ieee_invalid_op 0
		.amdhsa_exception_fp_denorm_src 0
		.amdhsa_exception_fp_ieee_div_zero 0
		.amdhsa_exception_fp_ieee_overflow 0
		.amdhsa_exception_fp_ieee_underflow 0
		.amdhsa_exception_fp_ieee_inexact 0
		.amdhsa_exception_int_div_zero 0
	.end_amdhsa_kernel
	.section	.text._Z17testOperationsGPUI15HIP_vector_typeIdLj3EES0_IdLj1EEEvPT_S4_i,"axG",@progbits,_Z17testOperationsGPUI15HIP_vector_typeIdLj3EES0_IdLj1EEEvPT_S4_i,comdat
.Lfunc_end2:
	.size	_Z17testOperationsGPUI15HIP_vector_typeIdLj3EES0_IdLj1EEEvPT_S4_i, .Lfunc_end2-_Z17testOperationsGPUI15HIP_vector_typeIdLj3EES0_IdLj1EEEvPT_S4_i
                                        ; -- End function
	.set _Z17testOperationsGPUI15HIP_vector_typeIdLj3EES0_IdLj1EEEvPT_S4_i.num_vgpr, 18
	.set _Z17testOperationsGPUI15HIP_vector_typeIdLj3EES0_IdLj1EEEvPT_S4_i.num_agpr, 0
	.set _Z17testOperationsGPUI15HIP_vector_typeIdLj3EES0_IdLj1EEEvPT_S4_i.numbered_sgpr, 4
	.set _Z17testOperationsGPUI15HIP_vector_typeIdLj3EES0_IdLj1EEEvPT_S4_i.num_named_barrier, 0
	.set _Z17testOperationsGPUI15HIP_vector_typeIdLj3EES0_IdLj1EEEvPT_S4_i.private_seg_size, 0
	.set _Z17testOperationsGPUI15HIP_vector_typeIdLj3EES0_IdLj1EEEvPT_S4_i.uses_vcc, 1
	.set _Z17testOperationsGPUI15HIP_vector_typeIdLj3EES0_IdLj1EEEvPT_S4_i.uses_flat_scratch, 0
	.set _Z17testOperationsGPUI15HIP_vector_typeIdLj3EES0_IdLj1EEEvPT_S4_i.has_dyn_sized_stack, 0
	.set _Z17testOperationsGPUI15HIP_vector_typeIdLj3EES0_IdLj1EEEvPT_S4_i.has_recursion, 0
	.set _Z17testOperationsGPUI15HIP_vector_typeIdLj3EES0_IdLj1EEEvPT_S4_i.has_indirect_call, 0
	.section	.AMDGPU.csdata,"",@progbits
; Kernel info:
; codeLenInByte = 380
; TotalNumSgprs: 6
; NumVgprs: 18
; ScratchSize: 0
; MemoryBound: 0
; FloatMode: 240
; IeeeMode: 1
; LDSByteSize: 0 bytes/workgroup (compile time only)
; SGPRBlocks: 0
; VGPRBlocks: 1
; NumSGPRsForWavesPerEU: 6
; NumVGPRsForWavesPerEU: 18
; NamedBarCnt: 0
; Occupancy: 16
; WaveLimiterHint : 0
; COMPUTE_PGM_RSRC2:SCRATCH_EN: 0
; COMPUTE_PGM_RSRC2:USER_SGPR: 2
; COMPUTE_PGM_RSRC2:TRAP_HANDLER: 0
; COMPUTE_PGM_RSRC2:TGID_X_EN: 1
; COMPUTE_PGM_RSRC2:TGID_Y_EN: 0
; COMPUTE_PGM_RSRC2:TGID_Z_EN: 0
; COMPUTE_PGM_RSRC2:TIDIG_COMP_CNT: 0
	.section	.text._Z17testOperationsGPUI15HIP_vector_typeIdLj4EES0_IdLj1EEEvPT_S4_i,"axG",@progbits,_Z17testOperationsGPUI15HIP_vector_typeIdLj4EES0_IdLj1EEEvPT_S4_i,comdat
	.protected	_Z17testOperationsGPUI15HIP_vector_typeIdLj4EES0_IdLj1EEEvPT_S4_i ; -- Begin function _Z17testOperationsGPUI15HIP_vector_typeIdLj4EES0_IdLj1EEEvPT_S4_i
	.globl	_Z17testOperationsGPUI15HIP_vector_typeIdLj4EES0_IdLj1EEEvPT_S4_i
	.p2align	8
	.type	_Z17testOperationsGPUI15HIP_vector_typeIdLj4EES0_IdLj1EEEvPT_S4_i,@function
_Z17testOperationsGPUI15HIP_vector_typeIdLj4EES0_IdLj1EEEvPT_S4_i: ; @_Z17testOperationsGPUI15HIP_vector_typeIdLj4EES0_IdLj1EEEvPT_S4_i
; %bb.0:
	s_load_b32 s2, s[0:1], 0x10
	s_wait_kmcnt 0x0
	v_cmp_ge_i32_e32 vcc_lo, s2, v0
	s_and_saveexec_b32 s2, vcc_lo
	s_cbranch_execz .LBB3_4
; %bb.1:
	s_load_b128 s[0:3], s[0:1], 0x0
	v_lshlrev_b32_e32 v8, 5, v0
	s_wait_kmcnt 0x0
	s_clause 0x1
	global_load_b64 v[0:1], v8, s[2:3]
	global_load_b64 v[2:3], v8, s[0:1]
	s_wait_loadcnt 0x0
	v_dual_add_f64 v[0:1], v[0:1], v[2:3] :: v_dual_mov_b32 v9, 0
	s_delay_alu instid0(VALU_DEP_1) | instskip(NEXT) | instid1(VALU_DEP_2)
	v_add_nc_u64_e32 v[2:3], s[2:3], v[8:9]
	v_add_f64_e32 v[0:1], 1.0, v[0:1]
	s_clause 0x1
	global_store_b64 v8, v[0:1], s[0:1]
	global_load_b64 v[0:1], v8, s[2:3]
	s_wait_loadcnt 0x0
	v_add_f64_e32 v[4:5], 1.0, v[0:1]
	v_add_nc_u64_e32 v[0:1], s[0:1], v[8:9]
	s_clause 0x2
	global_store_b64 v8, v[4:5], s[0:1] offset:8
	global_load_b64 v[6:7], v8, s[2:3] offset:8
	global_store_b64 v8, v[4:5], s[2:3]
	s_wait_loadcnt 0x0
	global_store_b64 v8, v[6:7], s[0:1]
	s_wait_xcnt 0x0
	s_mov_b32 s0, exec_lo
	v_cmpx_lt_f64_e32 0, v[6:7]
	s_cbranch_execz .LBB3_3
; %bb.2:
	global_load_b64 v[8:9], v[2:3], off
	s_wait_loadcnt 0x0
	v_div_scale_f64 v[10:11], null, v[6:7], v[6:7], v[8:9]
	s_delay_alu instid0(VALU_DEP_1) | instskip(SKIP_1) | instid1(TRANS32_DEP_1)
	v_rcp_f64_e32 v[12:13], v[10:11]
	v_nop
	v_fma_f64 v[14:15], -v[10:11], v[12:13], 1.0
	s_delay_alu instid0(VALU_DEP_1) | instskip(NEXT) | instid1(VALU_DEP_1)
	v_fmac_f64_e32 v[12:13], v[12:13], v[14:15]
	v_fma_f64 v[14:15], -v[10:11], v[12:13], 1.0
	s_delay_alu instid0(VALU_DEP_1) | instskip(SKIP_1) | instid1(VALU_DEP_1)
	v_fmac_f64_e32 v[12:13], v[12:13], v[14:15]
	v_div_scale_f64 v[14:15], vcc_lo, v[8:9], v[6:7], v[8:9]
	v_mul_f64_e32 v[16:17], v[14:15], v[12:13]
	s_delay_alu instid0(VALU_DEP_1) | instskip(NEXT) | instid1(VALU_DEP_1)
	v_fma_f64 v[10:11], -v[10:11], v[16:17], v[14:15]
	v_div_fmas_f64 v[10:11], v[10:11], v[12:13], v[16:17]
	s_delay_alu instid0(VALU_DEP_1)
	v_div_fixup_f64 v[6:7], v[10:11], v[6:7], v[8:9]
	global_store_b64 v[2:3], v[6:7], off
	global_load_b64 v[6:7], v[0:1], off
.LBB3_3:
	s_wait_xcnt 0x0
	s_or_b32 exec_lo, exec_lo, s0
	global_load_b64 v[10:11], v[2:3], off offset:16
	v_add_f64_e32 v[8:9], -1.0, v[4:5]
	s_wait_loadcnt 0x0
	v_mul_f64_e32 v[6:7], v[6:7], v[10:11]
	global_store_b128 v[0:1], v[6:9], off
	s_clause 0x1
	global_store_b64 v[2:3], v[6:7], off offset:24
	global_load_b64 v[4:5], v[2:3], off offset:8
	global_load_b64 v[6:7], v[0:1], off offset:24
	s_wait_loadcnt 0x0
	s_wait_xcnt 0x1
	v_add_f64_e64 v[2:3], v[6:7], -v[4:5]
	global_store_b64 v[0:1], v[2:3], off offset:24
.LBB3_4:
	s_endpgm
	.section	.rodata,"a",@progbits
	.p2align	6, 0x0
	.amdhsa_kernel _Z17testOperationsGPUI15HIP_vector_typeIdLj4EES0_IdLj1EEEvPT_S4_i
		.amdhsa_group_segment_fixed_size 0
		.amdhsa_private_segment_fixed_size 0
		.amdhsa_kernarg_size 20
		.amdhsa_user_sgpr_count 2
		.amdhsa_user_sgpr_dispatch_ptr 0
		.amdhsa_user_sgpr_queue_ptr 0
		.amdhsa_user_sgpr_kernarg_segment_ptr 1
		.amdhsa_user_sgpr_dispatch_id 0
		.amdhsa_user_sgpr_kernarg_preload_length 0
		.amdhsa_user_sgpr_kernarg_preload_offset 0
		.amdhsa_user_sgpr_private_segment_size 0
		.amdhsa_wavefront_size32 1
		.amdhsa_uses_dynamic_stack 0
		.amdhsa_enable_private_segment 0
		.amdhsa_system_sgpr_workgroup_id_x 1
		.amdhsa_system_sgpr_workgroup_id_y 0
		.amdhsa_system_sgpr_workgroup_id_z 0
		.amdhsa_system_sgpr_workgroup_info 0
		.amdhsa_system_vgpr_workitem_id 0
		.amdhsa_next_free_vgpr 18
		.amdhsa_next_free_sgpr 4
		.amdhsa_named_barrier_count 0
		.amdhsa_reserve_vcc 1
		.amdhsa_float_round_mode_32 0
		.amdhsa_float_round_mode_16_64 0
		.amdhsa_float_denorm_mode_32 3
		.amdhsa_float_denorm_mode_16_64 3
		.amdhsa_fp16_overflow 0
		.amdhsa_memory_ordered 1
		.amdhsa_forward_progress 1
		.amdhsa_inst_pref_size 4
		.amdhsa_round_robin_scheduling 0
		.amdhsa_exception_fp_ieee_invalid_op 0
		.amdhsa_exception_fp_denorm_src 0
		.amdhsa_exception_fp_ieee_div_zero 0
		.amdhsa_exception_fp_ieee_overflow 0
		.amdhsa_exception_fp_ieee_underflow 0
		.amdhsa_exception_fp_ieee_inexact 0
		.amdhsa_exception_int_div_zero 0
	.end_amdhsa_kernel
	.section	.text._Z17testOperationsGPUI15HIP_vector_typeIdLj4EES0_IdLj1EEEvPT_S4_i,"axG",@progbits,_Z17testOperationsGPUI15HIP_vector_typeIdLj4EES0_IdLj1EEEvPT_S4_i,comdat
.Lfunc_end3:
	.size	_Z17testOperationsGPUI15HIP_vector_typeIdLj4EES0_IdLj1EEEvPT_S4_i, .Lfunc_end3-_Z17testOperationsGPUI15HIP_vector_typeIdLj4EES0_IdLj1EEEvPT_S4_i
                                        ; -- End function
	.set _Z17testOperationsGPUI15HIP_vector_typeIdLj4EES0_IdLj1EEEvPT_S4_i.num_vgpr, 18
	.set _Z17testOperationsGPUI15HIP_vector_typeIdLj4EES0_IdLj1EEEvPT_S4_i.num_agpr, 0
	.set _Z17testOperationsGPUI15HIP_vector_typeIdLj4EES0_IdLj1EEEvPT_S4_i.numbered_sgpr, 4
	.set _Z17testOperationsGPUI15HIP_vector_typeIdLj4EES0_IdLj1EEEvPT_S4_i.num_named_barrier, 0
	.set _Z17testOperationsGPUI15HIP_vector_typeIdLj4EES0_IdLj1EEEvPT_S4_i.private_seg_size, 0
	.set _Z17testOperationsGPUI15HIP_vector_typeIdLj4EES0_IdLj1EEEvPT_S4_i.uses_vcc, 1
	.set _Z17testOperationsGPUI15HIP_vector_typeIdLj4EES0_IdLj1EEEvPT_S4_i.uses_flat_scratch, 0
	.set _Z17testOperationsGPUI15HIP_vector_typeIdLj4EES0_IdLj1EEEvPT_S4_i.has_dyn_sized_stack, 0
	.set _Z17testOperationsGPUI15HIP_vector_typeIdLj4EES0_IdLj1EEEvPT_S4_i.has_recursion, 0
	.set _Z17testOperationsGPUI15HIP_vector_typeIdLj4EES0_IdLj1EEEvPT_S4_i.has_indirect_call, 0
	.section	.AMDGPU.csdata,"",@progbits
; Kernel info:
; codeLenInByte = 460
; TotalNumSgprs: 6
; NumVgprs: 18
; ScratchSize: 0
; MemoryBound: 1
; FloatMode: 240
; IeeeMode: 1
; LDSByteSize: 0 bytes/workgroup (compile time only)
; SGPRBlocks: 0
; VGPRBlocks: 1
; NumSGPRsForWavesPerEU: 6
; NumVGPRsForWavesPerEU: 18
; NamedBarCnt: 0
; Occupancy: 16
; WaveLimiterHint : 1
; COMPUTE_PGM_RSRC2:SCRATCH_EN: 0
; COMPUTE_PGM_RSRC2:USER_SGPR: 2
; COMPUTE_PGM_RSRC2:TRAP_HANDLER: 0
; COMPUTE_PGM_RSRC2:TGID_X_EN: 1
; COMPUTE_PGM_RSRC2:TGID_Y_EN: 0
; COMPUTE_PGM_RSRC2:TGID_Z_EN: 0
; COMPUTE_PGM_RSRC2:TIDIG_COMP_CNT: 0
	.section	.text._Z17testOperationsGPUI15HIP_vector_typeIfLj1EES1_EvPT_S3_i,"axG",@progbits,_Z17testOperationsGPUI15HIP_vector_typeIfLj1EES1_EvPT_S3_i,comdat
	.protected	_Z17testOperationsGPUI15HIP_vector_typeIfLj1EES1_EvPT_S3_i ; -- Begin function _Z17testOperationsGPUI15HIP_vector_typeIfLj1EES1_EvPT_S3_i
	.globl	_Z17testOperationsGPUI15HIP_vector_typeIfLj1EES1_EvPT_S3_i
	.p2align	8
	.type	_Z17testOperationsGPUI15HIP_vector_typeIfLj1EES1_EvPT_S3_i,@function
_Z17testOperationsGPUI15HIP_vector_typeIfLj1EES1_EvPT_S3_i: ; @_Z17testOperationsGPUI15HIP_vector_typeIfLj1EES1_EvPT_S3_i
; %bb.0:
	s_load_b32 s2, s[0:1], 0x10
	s_wait_kmcnt 0x0
	v_cmp_ge_i32_e32 vcc_lo, s2, v0
	s_and_saveexec_b32 s2, vcc_lo
	s_cbranch_execz .LBB4_2
; %bb.1:
	s_load_b128 s[0:3], s[0:1], 0x0
	s_wait_kmcnt 0x0
	s_clause 0x1
	global_load_b32 v1, v0, s[2:3] scale_offset
	global_load_b32 v2, v0, s[0:1] scale_offset
	s_wait_loadcnt 0x0
	v_add_f32_e32 v1, v1, v2
	s_delay_alu instid0(VALU_DEP_1)
	v_add_f32_e32 v1, 1.0, v1
	s_clause 0x1
	global_store_b32 v0, v1, s[0:1] scale_offset
	global_load_b32 v1, v0, s[2:3] scale_offset
	s_wait_loadcnt 0x0
	v_add_f32_e32 v1, 1.0, v1
	global_store_b32 v0, v1, s[2:3] scale_offset
.LBB4_2:
	s_endpgm
	.section	.rodata,"a",@progbits
	.p2align	6, 0x0
	.amdhsa_kernel _Z17testOperationsGPUI15HIP_vector_typeIfLj1EES1_EvPT_S3_i
		.amdhsa_group_segment_fixed_size 0
		.amdhsa_private_segment_fixed_size 0
		.amdhsa_kernarg_size 20
		.amdhsa_user_sgpr_count 2
		.amdhsa_user_sgpr_dispatch_ptr 0
		.amdhsa_user_sgpr_queue_ptr 0
		.amdhsa_user_sgpr_kernarg_segment_ptr 1
		.amdhsa_user_sgpr_dispatch_id 0
		.amdhsa_user_sgpr_kernarg_preload_length 0
		.amdhsa_user_sgpr_kernarg_preload_offset 0
		.amdhsa_user_sgpr_private_segment_size 0
		.amdhsa_wavefront_size32 1
		.amdhsa_uses_dynamic_stack 0
		.amdhsa_enable_private_segment 0
		.amdhsa_system_sgpr_workgroup_id_x 1
		.amdhsa_system_sgpr_workgroup_id_y 0
		.amdhsa_system_sgpr_workgroup_id_z 0
		.amdhsa_system_sgpr_workgroup_info 0
		.amdhsa_system_vgpr_workitem_id 0
		.amdhsa_next_free_vgpr 3
		.amdhsa_next_free_sgpr 4
		.amdhsa_named_barrier_count 0
		.amdhsa_reserve_vcc 1
		.amdhsa_float_round_mode_32 0
		.amdhsa_float_round_mode_16_64 0
		.amdhsa_float_denorm_mode_32 3
		.amdhsa_float_denorm_mode_16_64 3
		.amdhsa_fp16_overflow 0
		.amdhsa_memory_ordered 1
		.amdhsa_forward_progress 1
		.amdhsa_inst_pref_size 2
		.amdhsa_round_robin_scheduling 0
		.amdhsa_exception_fp_ieee_invalid_op 0
		.amdhsa_exception_fp_denorm_src 0
		.amdhsa_exception_fp_ieee_div_zero 0
		.amdhsa_exception_fp_ieee_overflow 0
		.amdhsa_exception_fp_ieee_underflow 0
		.amdhsa_exception_fp_ieee_inexact 0
		.amdhsa_exception_int_div_zero 0
	.end_amdhsa_kernel
	.section	.text._Z17testOperationsGPUI15HIP_vector_typeIfLj1EES1_EvPT_S3_i,"axG",@progbits,_Z17testOperationsGPUI15HIP_vector_typeIfLj1EES1_EvPT_S3_i,comdat
.Lfunc_end4:
	.size	_Z17testOperationsGPUI15HIP_vector_typeIfLj1EES1_EvPT_S3_i, .Lfunc_end4-_Z17testOperationsGPUI15HIP_vector_typeIfLj1EES1_EvPT_S3_i
                                        ; -- End function
	.set _Z17testOperationsGPUI15HIP_vector_typeIfLj1EES1_EvPT_S3_i.num_vgpr, 3
	.set _Z17testOperationsGPUI15HIP_vector_typeIfLj1EES1_EvPT_S3_i.num_agpr, 0
	.set _Z17testOperationsGPUI15HIP_vector_typeIfLj1EES1_EvPT_S3_i.numbered_sgpr, 4
	.set _Z17testOperationsGPUI15HIP_vector_typeIfLj1EES1_EvPT_S3_i.num_named_barrier, 0
	.set _Z17testOperationsGPUI15HIP_vector_typeIfLj1EES1_EvPT_S3_i.private_seg_size, 0
	.set _Z17testOperationsGPUI15HIP_vector_typeIfLj1EES1_EvPT_S3_i.uses_vcc, 1
	.set _Z17testOperationsGPUI15HIP_vector_typeIfLj1EES1_EvPT_S3_i.uses_flat_scratch, 0
	.set _Z17testOperationsGPUI15HIP_vector_typeIfLj1EES1_EvPT_S3_i.has_dyn_sized_stack, 0
	.set _Z17testOperationsGPUI15HIP_vector_typeIfLj1EES1_EvPT_S3_i.has_recursion, 0
	.set _Z17testOperationsGPUI15HIP_vector_typeIfLj1EES1_EvPT_S3_i.has_indirect_call, 0
	.section	.AMDGPU.csdata,"",@progbits
; Kernel info:
; codeLenInByte = 132
; TotalNumSgprs: 6
; NumVgprs: 3
; ScratchSize: 0
; MemoryBound: 0
; FloatMode: 240
; IeeeMode: 1
; LDSByteSize: 0 bytes/workgroup (compile time only)
; SGPRBlocks: 0
; VGPRBlocks: 0
; NumSGPRsForWavesPerEU: 6
; NumVGPRsForWavesPerEU: 3
; NamedBarCnt: 0
; Occupancy: 16
; WaveLimiterHint : 0
; COMPUTE_PGM_RSRC2:SCRATCH_EN: 0
; COMPUTE_PGM_RSRC2:USER_SGPR: 2
; COMPUTE_PGM_RSRC2:TRAP_HANDLER: 0
; COMPUTE_PGM_RSRC2:TGID_X_EN: 1
; COMPUTE_PGM_RSRC2:TGID_Y_EN: 0
; COMPUTE_PGM_RSRC2:TGID_Z_EN: 0
; COMPUTE_PGM_RSRC2:TIDIG_COMP_CNT: 0
	.section	.text._Z17testOperationsGPUI15HIP_vector_typeIfLj2EES0_IfLj1EEEvPT_S4_i,"axG",@progbits,_Z17testOperationsGPUI15HIP_vector_typeIfLj2EES0_IfLj1EEEvPT_S4_i,comdat
	.protected	_Z17testOperationsGPUI15HIP_vector_typeIfLj2EES0_IfLj1EEEvPT_S4_i ; -- Begin function _Z17testOperationsGPUI15HIP_vector_typeIfLj2EES0_IfLj1EEEvPT_S4_i
	.globl	_Z17testOperationsGPUI15HIP_vector_typeIfLj2EES0_IfLj1EEEvPT_S4_i
	.p2align	8
	.type	_Z17testOperationsGPUI15HIP_vector_typeIfLj2EES0_IfLj1EEEvPT_S4_i,@function
_Z17testOperationsGPUI15HIP_vector_typeIfLj2EES0_IfLj1EEEvPT_S4_i: ; @_Z17testOperationsGPUI15HIP_vector_typeIfLj2EES0_IfLj1EEEvPT_S4_i
; %bb.0:
	s_load_b32 s2, s[0:1], 0x10
	s_wait_kmcnt 0x0
	v_cmp_ge_i32_e32 vcc_lo, s2, v0
	s_and_saveexec_b32 s2, vcc_lo
	s_cbranch_execz .LBB5_2
; %bb.1:
	s_load_b128 s[0:3], s[0:1], 0x0
	v_lshlrev_b32_e32 v0, 3, v0
	s_wait_kmcnt 0x0
	s_clause 0x1
	global_load_b32 v1, v0, s[2:3]
	global_load_b32 v2, v0, s[0:1]
	s_wait_loadcnt 0x0
	v_add_f32_e32 v1, v1, v2
	s_delay_alu instid0(VALU_DEP_1)
	v_add_f32_e32 v1, 1.0, v1
	s_clause 0x1
	global_store_b32 v0, v1, s[0:1]
	global_load_b32 v1, v0, s[2:3]
	s_wait_loadcnt 0x0
	v_add_f32_e32 v1, 1.0, v1
	s_clause 0x2
	global_store_b32 v0, v1, s[0:1] offset:4
	global_load_b32 v2, v0, s[2:3] offset:4
	global_store_b32 v0, v1, s[2:3]
	s_wait_loadcnt 0x0
	global_store_b32 v0, v2, s[0:1]
.LBB5_2:
	s_endpgm
	.section	.rodata,"a",@progbits
	.p2align	6, 0x0
	.amdhsa_kernel _Z17testOperationsGPUI15HIP_vector_typeIfLj2EES0_IfLj1EEEvPT_S4_i
		.amdhsa_group_segment_fixed_size 0
		.amdhsa_private_segment_fixed_size 0
		.amdhsa_kernarg_size 20
		.amdhsa_user_sgpr_count 2
		.amdhsa_user_sgpr_dispatch_ptr 0
		.amdhsa_user_sgpr_queue_ptr 0
		.amdhsa_user_sgpr_kernarg_segment_ptr 1
		.amdhsa_user_sgpr_dispatch_id 0
		.amdhsa_user_sgpr_kernarg_preload_length 0
		.amdhsa_user_sgpr_kernarg_preload_offset 0
		.amdhsa_user_sgpr_private_segment_size 0
		.amdhsa_wavefront_size32 1
		.amdhsa_uses_dynamic_stack 0
		.amdhsa_enable_private_segment 0
		.amdhsa_system_sgpr_workgroup_id_x 1
		.amdhsa_system_sgpr_workgroup_id_y 0
		.amdhsa_system_sgpr_workgroup_id_z 0
		.amdhsa_system_sgpr_workgroup_info 0
		.amdhsa_system_vgpr_workitem_id 0
		.amdhsa_next_free_vgpr 3
		.amdhsa_next_free_sgpr 4
		.amdhsa_named_barrier_count 0
		.amdhsa_reserve_vcc 1
		.amdhsa_float_round_mode_32 0
		.amdhsa_float_round_mode_16_64 0
		.amdhsa_float_denorm_mode_32 3
		.amdhsa_float_denorm_mode_16_64 3
		.amdhsa_fp16_overflow 0
		.amdhsa_memory_ordered 1
		.amdhsa_forward_progress 1
		.amdhsa_inst_pref_size 2
		.amdhsa_round_robin_scheduling 0
		.amdhsa_exception_fp_ieee_invalid_op 0
		.amdhsa_exception_fp_denorm_src 0
		.amdhsa_exception_fp_ieee_div_zero 0
		.amdhsa_exception_fp_ieee_overflow 0
		.amdhsa_exception_fp_ieee_underflow 0
		.amdhsa_exception_fp_ieee_inexact 0
		.amdhsa_exception_int_div_zero 0
	.end_amdhsa_kernel
	.section	.text._Z17testOperationsGPUI15HIP_vector_typeIfLj2EES0_IfLj1EEEvPT_S4_i,"axG",@progbits,_Z17testOperationsGPUI15HIP_vector_typeIfLj2EES0_IfLj1EEEvPT_S4_i,comdat
.Lfunc_end5:
	.size	_Z17testOperationsGPUI15HIP_vector_typeIfLj2EES0_IfLj1EEEvPT_S4_i, .Lfunc_end5-_Z17testOperationsGPUI15HIP_vector_typeIfLj2EES0_IfLj1EEEvPT_S4_i
                                        ; -- End function
	.set _Z17testOperationsGPUI15HIP_vector_typeIfLj2EES0_IfLj1EEEvPT_S4_i.num_vgpr, 3
	.set _Z17testOperationsGPUI15HIP_vector_typeIfLj2EES0_IfLj1EEEvPT_S4_i.num_agpr, 0
	.set _Z17testOperationsGPUI15HIP_vector_typeIfLj2EES0_IfLj1EEEvPT_S4_i.numbered_sgpr, 4
	.set _Z17testOperationsGPUI15HIP_vector_typeIfLj2EES0_IfLj1EEEvPT_S4_i.num_named_barrier, 0
	.set _Z17testOperationsGPUI15HIP_vector_typeIfLj2EES0_IfLj1EEEvPT_S4_i.private_seg_size, 0
	.set _Z17testOperationsGPUI15HIP_vector_typeIfLj2EES0_IfLj1EEEvPT_S4_i.uses_vcc, 1
	.set _Z17testOperationsGPUI15HIP_vector_typeIfLj2EES0_IfLj1EEEvPT_S4_i.uses_flat_scratch, 0
	.set _Z17testOperationsGPUI15HIP_vector_typeIfLj2EES0_IfLj1EEEvPT_S4_i.has_dyn_sized_stack, 0
	.set _Z17testOperationsGPUI15HIP_vector_typeIfLj2EES0_IfLj1EEEvPT_S4_i.has_recursion, 0
	.set _Z17testOperationsGPUI15HIP_vector_typeIfLj2EES0_IfLj1EEEvPT_S4_i.has_indirect_call, 0
	.section	.AMDGPU.csdata,"",@progbits
; Kernel info:
; codeLenInByte = 180
; TotalNumSgprs: 6
; NumVgprs: 3
; ScratchSize: 0
; MemoryBound: 0
; FloatMode: 240
; IeeeMode: 1
; LDSByteSize: 0 bytes/workgroup (compile time only)
; SGPRBlocks: 0
; VGPRBlocks: 0
; NumSGPRsForWavesPerEU: 6
; NumVGPRsForWavesPerEU: 3
; NamedBarCnt: 0
; Occupancy: 16
; WaveLimiterHint : 0
; COMPUTE_PGM_RSRC2:SCRATCH_EN: 0
; COMPUTE_PGM_RSRC2:USER_SGPR: 2
; COMPUTE_PGM_RSRC2:TRAP_HANDLER: 0
; COMPUTE_PGM_RSRC2:TGID_X_EN: 1
; COMPUTE_PGM_RSRC2:TGID_Y_EN: 0
; COMPUTE_PGM_RSRC2:TGID_Z_EN: 0
; COMPUTE_PGM_RSRC2:TIDIG_COMP_CNT: 0
	.section	.text._Z17testOperationsGPUI15HIP_vector_typeIfLj3EES0_IfLj1EEEvPT_S4_i,"axG",@progbits,_Z17testOperationsGPUI15HIP_vector_typeIfLj3EES0_IfLj1EEEvPT_S4_i,comdat
	.protected	_Z17testOperationsGPUI15HIP_vector_typeIfLj3EES0_IfLj1EEEvPT_S4_i ; -- Begin function _Z17testOperationsGPUI15HIP_vector_typeIfLj3EES0_IfLj1EEEvPT_S4_i
	.globl	_Z17testOperationsGPUI15HIP_vector_typeIfLj3EES0_IfLj1EEEvPT_S4_i
	.p2align	8
	.type	_Z17testOperationsGPUI15HIP_vector_typeIfLj3EES0_IfLj1EEEvPT_S4_i,@function
_Z17testOperationsGPUI15HIP_vector_typeIfLj3EES0_IfLj1EEEvPT_S4_i: ; @_Z17testOperationsGPUI15HIP_vector_typeIfLj3EES0_IfLj1EEEvPT_S4_i
; %bb.0:
	s_load_b32 s2, s[0:1], 0x10
	s_wait_kmcnt 0x0
	v_cmp_ge_i32_e32 vcc_lo, s2, v0
	s_and_saveexec_b32 s2, vcc_lo
	s_cbranch_execz .LBB6_4
; %bb.1:
	s_load_b128 s[0:3], s[0:1], 0x0
	s_wait_kmcnt 0x0
	v_mad_nc_u64_u32 v[2:3], v0, 12, s[2:3]
	v_mad_nc_u64_u32 v[0:1], v0, 12, s[0:1]
	s_mov_b32 s0, exec_lo
	global_load_b32 v4, v[2:3], off
	global_load_b32 v5, v[0:1], off
	s_wait_loadcnt 0x0
	v_add_f32_e32 v4, v4, v5
	s_delay_alu instid0(VALU_DEP_1)
	v_add_f32_e32 v4, 1.0, v4
	global_store_b32 v[0:1], v4, off
	global_load_b32 v4, v[2:3], off
	s_wait_loadcnt 0x0
	v_add_f32_e32 v4, 1.0, v4
	global_store_b32 v[0:1], v4, off offset:4
	s_clause 0x1
	global_load_b32 v5, v[2:3], off offset:4
	global_store_b32 v[2:3], v4, off
	s_wait_loadcnt 0x0
	global_store_b32 v[0:1], v5, off
	s_wait_xcnt 0x0
	v_cmpx_lt_f32_e32 0, v5
	s_cbranch_execz .LBB6_3
; %bb.2:
	global_load_b32 v6, v[2:3], off
	s_wait_loadcnt 0x0
	v_div_scale_f32 v7, null, v5, v5, v6
	s_delay_alu instid0(VALU_DEP_1) | instskip(SKIP_1) | instid1(TRANS32_DEP_1)
	v_rcp_f32_e32 v8, v7
	v_nop
	v_fma_f32 v9, -v7, v8, 1.0
	s_delay_alu instid0(VALU_DEP_1) | instskip(SKIP_1) | instid1(VALU_DEP_1)
	v_fmac_f32_e32 v8, v9, v8
	v_div_scale_f32 v9, vcc_lo, v6, v5, v6
	v_mul_f32_e32 v10, v9, v8
	s_delay_alu instid0(VALU_DEP_1) | instskip(NEXT) | instid1(VALU_DEP_1)
	v_fma_f32 v11, -v7, v10, v9
	v_fmac_f32_e32 v10, v11, v8
	s_delay_alu instid0(VALU_DEP_1) | instskip(NEXT) | instid1(VALU_DEP_1)
	v_fma_f32 v7, -v7, v10, v9
	v_div_fmas_f32 v7, v7, v8, v10
	s_delay_alu instid0(VALU_DEP_1)
	v_div_fixup_f32 v5, v7, v5, v6
	global_store_b32 v[2:3], v5, off
	global_load_b32 v5, v[0:1], off
.LBB6_3:
	s_wait_xcnt 0x0
	s_or_b32 exec_lo, exec_lo, s0
	global_load_b32 v2, v[2:3], off offset:8
	s_wait_loadcnt 0x0
	v_dual_add_f32 v3, -1.0, v4 :: v_dual_mul_f32 v2, v5, v2
	global_store_b64 v[0:1], v[2:3], off
.LBB6_4:
	s_endpgm
	.section	.rodata,"a",@progbits
	.p2align	6, 0x0
	.amdhsa_kernel _Z17testOperationsGPUI15HIP_vector_typeIfLj3EES0_IfLj1EEEvPT_S4_i
		.amdhsa_group_segment_fixed_size 0
		.amdhsa_private_segment_fixed_size 0
		.amdhsa_kernarg_size 20
		.amdhsa_user_sgpr_count 2
		.amdhsa_user_sgpr_dispatch_ptr 0
		.amdhsa_user_sgpr_queue_ptr 0
		.amdhsa_user_sgpr_kernarg_segment_ptr 1
		.amdhsa_user_sgpr_dispatch_id 0
		.amdhsa_user_sgpr_kernarg_preload_length 0
		.amdhsa_user_sgpr_kernarg_preload_offset 0
		.amdhsa_user_sgpr_private_segment_size 0
		.amdhsa_wavefront_size32 1
		.amdhsa_uses_dynamic_stack 0
		.amdhsa_enable_private_segment 0
		.amdhsa_system_sgpr_workgroup_id_x 1
		.amdhsa_system_sgpr_workgroup_id_y 0
		.amdhsa_system_sgpr_workgroup_id_z 0
		.amdhsa_system_sgpr_workgroup_info 0
		.amdhsa_system_vgpr_workitem_id 0
		.amdhsa_next_free_vgpr 12
		.amdhsa_next_free_sgpr 4
		.amdhsa_named_barrier_count 0
		.amdhsa_reserve_vcc 1
		.amdhsa_float_round_mode_32 0
		.amdhsa_float_round_mode_16_64 0
		.amdhsa_float_denorm_mode_32 3
		.amdhsa_float_denorm_mode_16_64 3
		.amdhsa_fp16_overflow 0
		.amdhsa_memory_ordered 1
		.amdhsa_forward_progress 1
		.amdhsa_inst_pref_size 3
		.amdhsa_round_robin_scheduling 0
		.amdhsa_exception_fp_ieee_invalid_op 0
		.amdhsa_exception_fp_denorm_src 0
		.amdhsa_exception_fp_ieee_div_zero 0
		.amdhsa_exception_fp_ieee_overflow 0
		.amdhsa_exception_fp_ieee_underflow 0
		.amdhsa_exception_fp_ieee_inexact 0
		.amdhsa_exception_int_div_zero 0
	.end_amdhsa_kernel
	.section	.text._Z17testOperationsGPUI15HIP_vector_typeIfLj3EES0_IfLj1EEEvPT_S4_i,"axG",@progbits,_Z17testOperationsGPUI15HIP_vector_typeIfLj3EES0_IfLj1EEEvPT_S4_i,comdat
.Lfunc_end6:
	.size	_Z17testOperationsGPUI15HIP_vector_typeIfLj3EES0_IfLj1EEEvPT_S4_i, .Lfunc_end6-_Z17testOperationsGPUI15HIP_vector_typeIfLj3EES0_IfLj1EEEvPT_S4_i
                                        ; -- End function
	.set _Z17testOperationsGPUI15HIP_vector_typeIfLj3EES0_IfLj1EEEvPT_S4_i.num_vgpr, 12
	.set _Z17testOperationsGPUI15HIP_vector_typeIfLj3EES0_IfLj1EEEvPT_S4_i.num_agpr, 0
	.set _Z17testOperationsGPUI15HIP_vector_typeIfLj3EES0_IfLj1EEEvPT_S4_i.numbered_sgpr, 4
	.set _Z17testOperationsGPUI15HIP_vector_typeIfLj3EES0_IfLj1EEEvPT_S4_i.num_named_barrier, 0
	.set _Z17testOperationsGPUI15HIP_vector_typeIfLj3EES0_IfLj1EEEvPT_S4_i.private_seg_size, 0
	.set _Z17testOperationsGPUI15HIP_vector_typeIfLj3EES0_IfLj1EEEvPT_S4_i.uses_vcc, 1
	.set _Z17testOperationsGPUI15HIP_vector_typeIfLj3EES0_IfLj1EEEvPT_S4_i.uses_flat_scratch, 0
	.set _Z17testOperationsGPUI15HIP_vector_typeIfLj3EES0_IfLj1EEEvPT_S4_i.has_dyn_sized_stack, 0
	.set _Z17testOperationsGPUI15HIP_vector_typeIfLj3EES0_IfLj1EEEvPT_S4_i.has_recursion, 0
	.set _Z17testOperationsGPUI15HIP_vector_typeIfLj3EES0_IfLj1EEEvPT_S4_i.has_indirect_call, 0
	.section	.AMDGPU.csdata,"",@progbits
; Kernel info:
; codeLenInByte = 380
; TotalNumSgprs: 6
; NumVgprs: 12
; ScratchSize: 0
; MemoryBound: 0
; FloatMode: 240
; IeeeMode: 1
; LDSByteSize: 0 bytes/workgroup (compile time only)
; SGPRBlocks: 0
; VGPRBlocks: 0
; NumSGPRsForWavesPerEU: 6
; NumVGPRsForWavesPerEU: 12
; NamedBarCnt: 0
; Occupancy: 16
; WaveLimiterHint : 0
; COMPUTE_PGM_RSRC2:SCRATCH_EN: 0
; COMPUTE_PGM_RSRC2:USER_SGPR: 2
; COMPUTE_PGM_RSRC2:TRAP_HANDLER: 0
; COMPUTE_PGM_RSRC2:TGID_X_EN: 1
; COMPUTE_PGM_RSRC2:TGID_Y_EN: 0
; COMPUTE_PGM_RSRC2:TGID_Z_EN: 0
; COMPUTE_PGM_RSRC2:TIDIG_COMP_CNT: 0
	.section	.text._Z17testOperationsGPUI15HIP_vector_typeIfLj4EES0_IfLj1EEEvPT_S4_i,"axG",@progbits,_Z17testOperationsGPUI15HIP_vector_typeIfLj4EES0_IfLj1EEEvPT_S4_i,comdat
	.protected	_Z17testOperationsGPUI15HIP_vector_typeIfLj4EES0_IfLj1EEEvPT_S4_i ; -- Begin function _Z17testOperationsGPUI15HIP_vector_typeIfLj4EES0_IfLj1EEEvPT_S4_i
	.globl	_Z17testOperationsGPUI15HIP_vector_typeIfLj4EES0_IfLj1EEEvPT_S4_i
	.p2align	8
	.type	_Z17testOperationsGPUI15HIP_vector_typeIfLj4EES0_IfLj1EEEvPT_S4_i,@function
_Z17testOperationsGPUI15HIP_vector_typeIfLj4EES0_IfLj1EEEvPT_S4_i: ; @_Z17testOperationsGPUI15HIP_vector_typeIfLj4EES0_IfLj1EEEvPT_S4_i
; %bb.0:
	s_load_b32 s2, s[0:1], 0x10
	s_wait_kmcnt 0x0
	v_cmp_ge_i32_e32 vcc_lo, s2, v0
	s_and_saveexec_b32 s2, vcc_lo
	s_cbranch_execz .LBB7_4
; %bb.1:
	s_load_b128 s[0:3], s[0:1], 0x0
	v_lshlrev_b32_e32 v6, 4, v0
	s_wait_kmcnt 0x0
	s_clause 0x1
	global_load_b32 v0, v6, s[2:3]
	global_load_b32 v1, v6, s[0:1]
	s_wait_loadcnt 0x0
	v_dual_mov_b32 v7, 0 :: v_dual_add_f32 v0, v0, v1
	s_delay_alu instid0(VALU_DEP_1) | instskip(NEXT) | instid1(VALU_DEP_2)
	v_add_nc_u64_e32 v[2:3], s[2:3], v[6:7]
	v_add_f32_e32 v0, 1.0, v0
	s_clause 0x1
	global_store_b32 v6, v0, s[0:1]
	global_load_b32 v0, v6, s[2:3]
	s_wait_loadcnt 0x0
	v_add_f32_e32 v4, 1.0, v0
	v_add_nc_u64_e32 v[0:1], s[0:1], v[6:7]
	s_clause 0x2
	global_store_b32 v6, v4, s[0:1] offset:4
	global_load_b32 v5, v6, s[2:3] offset:4
	global_store_b32 v6, v4, s[2:3]
	s_wait_loadcnt 0x0
	global_store_b32 v6, v5, s[0:1]
	s_wait_xcnt 0x0
	s_mov_b32 s0, exec_lo
	v_cmpx_lt_f32_e32 0, v5
	s_cbranch_execz .LBB7_3
; %bb.2:
	global_load_b32 v6, v[2:3], off
	s_wait_loadcnt 0x0
	v_div_scale_f32 v7, null, v5, v5, v6
	s_delay_alu instid0(VALU_DEP_1) | instskip(SKIP_1) | instid1(TRANS32_DEP_1)
	v_rcp_f32_e32 v8, v7
	v_nop
	v_fma_f32 v9, -v7, v8, 1.0
	s_delay_alu instid0(VALU_DEP_1) | instskip(SKIP_1) | instid1(VALU_DEP_1)
	v_fmac_f32_e32 v8, v9, v8
	v_div_scale_f32 v9, vcc_lo, v6, v5, v6
	v_mul_f32_e32 v10, v9, v8
	s_delay_alu instid0(VALU_DEP_1) | instskip(NEXT) | instid1(VALU_DEP_1)
	v_fma_f32 v11, -v7, v10, v9
	v_fmac_f32_e32 v10, v11, v8
	s_delay_alu instid0(VALU_DEP_1) | instskip(NEXT) | instid1(VALU_DEP_1)
	v_fma_f32 v7, -v7, v10, v9
	v_div_fmas_f32 v7, v7, v8, v10
	s_delay_alu instid0(VALU_DEP_1)
	v_div_fixup_f32 v5, v7, v5, v6
	global_store_b32 v[2:3], v5, off
	global_load_b32 v5, v[0:1], off
.LBB7_3:
	s_wait_xcnt 0x0
	s_or_b32 exec_lo, exec_lo, s0
	global_load_b32 v6, v[2:3], off offset:8
	s_wait_loadcnt 0x0
	v_dual_add_f32 v7, -1.0, v4 :: v_dual_mul_f32 v6, v5, v6
	global_store_b64 v[0:1], v[6:7], off
	s_clause 0x1
	global_store_b32 v[2:3], v6, off offset:12
	global_load_b32 v4, v[2:3], off offset:4
	global_load_b32 v5, v[0:1], off offset:12
	s_wait_loadcnt 0x0
	s_wait_xcnt 0x1
	v_sub_f32_e32 v2, v5, v4
	global_store_b32 v[0:1], v2, off offset:12
.LBB7_4:
	s_endpgm
	.section	.rodata,"a",@progbits
	.p2align	6, 0x0
	.amdhsa_kernel _Z17testOperationsGPUI15HIP_vector_typeIfLj4EES0_IfLj1EEEvPT_S4_i
		.amdhsa_group_segment_fixed_size 0
		.amdhsa_private_segment_fixed_size 0
		.amdhsa_kernarg_size 20
		.amdhsa_user_sgpr_count 2
		.amdhsa_user_sgpr_dispatch_ptr 0
		.amdhsa_user_sgpr_queue_ptr 0
		.amdhsa_user_sgpr_kernarg_segment_ptr 1
		.amdhsa_user_sgpr_dispatch_id 0
		.amdhsa_user_sgpr_kernarg_preload_length 0
		.amdhsa_user_sgpr_kernarg_preload_offset 0
		.amdhsa_user_sgpr_private_segment_size 0
		.amdhsa_wavefront_size32 1
		.amdhsa_uses_dynamic_stack 0
		.amdhsa_enable_private_segment 0
		.amdhsa_system_sgpr_workgroup_id_x 1
		.amdhsa_system_sgpr_workgroup_id_y 0
		.amdhsa_system_sgpr_workgroup_id_z 0
		.amdhsa_system_sgpr_workgroup_info 0
		.amdhsa_system_vgpr_workitem_id 0
		.amdhsa_next_free_vgpr 12
		.amdhsa_next_free_sgpr 4
		.amdhsa_named_barrier_count 0
		.amdhsa_reserve_vcc 1
		.amdhsa_float_round_mode_32 0
		.amdhsa_float_round_mode_16_64 0
		.amdhsa_float_denorm_mode_32 3
		.amdhsa_float_denorm_mode_16_64 3
		.amdhsa_fp16_overflow 0
		.amdhsa_memory_ordered 1
		.amdhsa_forward_progress 1
		.amdhsa_inst_pref_size 4
		.amdhsa_round_robin_scheduling 0
		.amdhsa_exception_fp_ieee_invalid_op 0
		.amdhsa_exception_fp_denorm_src 0
		.amdhsa_exception_fp_ieee_div_zero 0
		.amdhsa_exception_fp_ieee_overflow 0
		.amdhsa_exception_fp_ieee_underflow 0
		.amdhsa_exception_fp_ieee_inexact 0
		.amdhsa_exception_int_div_zero 0
	.end_amdhsa_kernel
	.section	.text._Z17testOperationsGPUI15HIP_vector_typeIfLj4EES0_IfLj1EEEvPT_S4_i,"axG",@progbits,_Z17testOperationsGPUI15HIP_vector_typeIfLj4EES0_IfLj1EEEvPT_S4_i,comdat
.Lfunc_end7:
	.size	_Z17testOperationsGPUI15HIP_vector_typeIfLj4EES0_IfLj1EEEvPT_S4_i, .Lfunc_end7-_Z17testOperationsGPUI15HIP_vector_typeIfLj4EES0_IfLj1EEEvPT_S4_i
                                        ; -- End function
	.set _Z17testOperationsGPUI15HIP_vector_typeIfLj4EES0_IfLj1EEEvPT_S4_i.num_vgpr, 12
	.set _Z17testOperationsGPUI15HIP_vector_typeIfLj4EES0_IfLj1EEEvPT_S4_i.num_agpr, 0
	.set _Z17testOperationsGPUI15HIP_vector_typeIfLj4EES0_IfLj1EEEvPT_S4_i.numbered_sgpr, 4
	.set _Z17testOperationsGPUI15HIP_vector_typeIfLj4EES0_IfLj1EEEvPT_S4_i.num_named_barrier, 0
	.set _Z17testOperationsGPUI15HIP_vector_typeIfLj4EES0_IfLj1EEEvPT_S4_i.private_seg_size, 0
	.set _Z17testOperationsGPUI15HIP_vector_typeIfLj4EES0_IfLj1EEEvPT_S4_i.uses_vcc, 1
	.set _Z17testOperationsGPUI15HIP_vector_typeIfLj4EES0_IfLj1EEEvPT_S4_i.uses_flat_scratch, 0
	.set _Z17testOperationsGPUI15HIP_vector_typeIfLj4EES0_IfLj1EEEvPT_S4_i.has_dyn_sized_stack, 0
	.set _Z17testOperationsGPUI15HIP_vector_typeIfLj4EES0_IfLj1EEEvPT_S4_i.has_recursion, 0
	.set _Z17testOperationsGPUI15HIP_vector_typeIfLj4EES0_IfLj1EEEvPT_S4_i.has_indirect_call, 0
	.section	.AMDGPU.csdata,"",@progbits
; Kernel info:
; codeLenInByte = 452
; TotalNumSgprs: 6
; NumVgprs: 12
; ScratchSize: 0
; MemoryBound: 0
; FloatMode: 240
; IeeeMode: 1
; LDSByteSize: 0 bytes/workgroup (compile time only)
; SGPRBlocks: 0
; VGPRBlocks: 0
; NumSGPRsForWavesPerEU: 6
; NumVGPRsForWavesPerEU: 12
; NamedBarCnt: 0
; Occupancy: 16
; WaveLimiterHint : 0
; COMPUTE_PGM_RSRC2:SCRATCH_EN: 0
; COMPUTE_PGM_RSRC2:USER_SGPR: 2
; COMPUTE_PGM_RSRC2:TRAP_HANDLER: 0
; COMPUTE_PGM_RSRC2:TGID_X_EN: 1
; COMPUTE_PGM_RSRC2:TGID_Y_EN: 0
; COMPUTE_PGM_RSRC2:TGID_Z_EN: 0
; COMPUTE_PGM_RSRC2:TIDIG_COMP_CNT: 0
	.section	.text._Z17testOperationsGPUI15HIP_vector_typeIiLj1EES1_EvPT_S3_i,"axG",@progbits,_Z17testOperationsGPUI15HIP_vector_typeIiLj1EES1_EvPT_S3_i,comdat
	.protected	_Z17testOperationsGPUI15HIP_vector_typeIiLj1EES1_EvPT_S3_i ; -- Begin function _Z17testOperationsGPUI15HIP_vector_typeIiLj1EES1_EvPT_S3_i
	.globl	_Z17testOperationsGPUI15HIP_vector_typeIiLj1EES1_EvPT_S3_i
	.p2align	8
	.type	_Z17testOperationsGPUI15HIP_vector_typeIiLj1EES1_EvPT_S3_i,@function
_Z17testOperationsGPUI15HIP_vector_typeIiLj1EES1_EvPT_S3_i: ; @_Z17testOperationsGPUI15HIP_vector_typeIiLj1EES1_EvPT_S3_i
; %bb.0:
	s_load_b32 s2, s[0:1], 0x10
	s_wait_kmcnt 0x0
	v_cmp_ge_i32_e32 vcc_lo, s2, v0
	s_and_saveexec_b32 s2, vcc_lo
	s_cbranch_execz .LBB8_2
; %bb.1:
	s_load_b128 s[0:3], s[0:1], 0x0
	s_wait_kmcnt 0x0
	s_clause 0x1
	global_load_b32 v1, v0, s[2:3] scale_offset
	global_load_b32 v2, v0, s[0:1] scale_offset
	s_wait_loadcnt 0x0
	v_add3_u32 v1, v1, v2, 1
	s_clause 0x1
	global_store_b32 v0, v1, s[0:1] scale_offset
	global_load_b32 v1, v0, s[2:3] scale_offset
	s_wait_loadcnt 0x0
	v_add_nc_u32_e32 v1, 1, v1
	global_store_b32 v0, v1, s[2:3] scale_offset
.LBB8_2:
	s_endpgm
	.section	.rodata,"a",@progbits
	.p2align	6, 0x0
	.amdhsa_kernel _Z17testOperationsGPUI15HIP_vector_typeIiLj1EES1_EvPT_S3_i
		.amdhsa_group_segment_fixed_size 0
		.amdhsa_private_segment_fixed_size 0
		.amdhsa_kernarg_size 20
		.amdhsa_user_sgpr_count 2
		.amdhsa_user_sgpr_dispatch_ptr 0
		.amdhsa_user_sgpr_queue_ptr 0
		.amdhsa_user_sgpr_kernarg_segment_ptr 1
		.amdhsa_user_sgpr_dispatch_id 0
		.amdhsa_user_sgpr_kernarg_preload_length 0
		.amdhsa_user_sgpr_kernarg_preload_offset 0
		.amdhsa_user_sgpr_private_segment_size 0
		.amdhsa_wavefront_size32 1
		.amdhsa_uses_dynamic_stack 0
		.amdhsa_enable_private_segment 0
		.amdhsa_system_sgpr_workgroup_id_x 1
		.amdhsa_system_sgpr_workgroup_id_y 0
		.amdhsa_system_sgpr_workgroup_id_z 0
		.amdhsa_system_sgpr_workgroup_info 0
		.amdhsa_system_vgpr_workitem_id 0
		.amdhsa_next_free_vgpr 3
		.amdhsa_next_free_sgpr 4
		.amdhsa_named_barrier_count 0
		.amdhsa_reserve_vcc 1
		.amdhsa_float_round_mode_32 0
		.amdhsa_float_round_mode_16_64 0
		.amdhsa_float_denorm_mode_32 3
		.amdhsa_float_denorm_mode_16_64 3
		.amdhsa_fp16_overflow 0
		.amdhsa_memory_ordered 1
		.amdhsa_forward_progress 1
		.amdhsa_inst_pref_size 1
		.amdhsa_round_robin_scheduling 0
		.amdhsa_exception_fp_ieee_invalid_op 0
		.amdhsa_exception_fp_denorm_src 0
		.amdhsa_exception_fp_ieee_div_zero 0
		.amdhsa_exception_fp_ieee_overflow 0
		.amdhsa_exception_fp_ieee_underflow 0
		.amdhsa_exception_fp_ieee_inexact 0
		.amdhsa_exception_int_div_zero 0
	.end_amdhsa_kernel
	.section	.text._Z17testOperationsGPUI15HIP_vector_typeIiLj1EES1_EvPT_S3_i,"axG",@progbits,_Z17testOperationsGPUI15HIP_vector_typeIiLj1EES1_EvPT_S3_i,comdat
.Lfunc_end8:
	.size	_Z17testOperationsGPUI15HIP_vector_typeIiLj1EES1_EvPT_S3_i, .Lfunc_end8-_Z17testOperationsGPUI15HIP_vector_typeIiLj1EES1_EvPT_S3_i
                                        ; -- End function
	.set _Z17testOperationsGPUI15HIP_vector_typeIiLj1EES1_EvPT_S3_i.num_vgpr, 3
	.set _Z17testOperationsGPUI15HIP_vector_typeIiLj1EES1_EvPT_S3_i.num_agpr, 0
	.set _Z17testOperationsGPUI15HIP_vector_typeIiLj1EES1_EvPT_S3_i.numbered_sgpr, 4
	.set _Z17testOperationsGPUI15HIP_vector_typeIiLj1EES1_EvPT_S3_i.num_named_barrier, 0
	.set _Z17testOperationsGPUI15HIP_vector_typeIiLj1EES1_EvPT_S3_i.private_seg_size, 0
	.set _Z17testOperationsGPUI15HIP_vector_typeIiLj1EES1_EvPT_S3_i.uses_vcc, 1
	.set _Z17testOperationsGPUI15HIP_vector_typeIiLj1EES1_EvPT_S3_i.uses_flat_scratch, 0
	.set _Z17testOperationsGPUI15HIP_vector_typeIiLj1EES1_EvPT_S3_i.has_dyn_sized_stack, 0
	.set _Z17testOperationsGPUI15HIP_vector_typeIiLj1EES1_EvPT_S3_i.has_recursion, 0
	.set _Z17testOperationsGPUI15HIP_vector_typeIiLj1EES1_EvPT_S3_i.has_indirect_call, 0
	.section	.AMDGPU.csdata,"",@progbits
; Kernel info:
; codeLenInByte = 128
; TotalNumSgprs: 6
; NumVgprs: 3
; ScratchSize: 0
; MemoryBound: 0
; FloatMode: 240
; IeeeMode: 1
; LDSByteSize: 0 bytes/workgroup (compile time only)
; SGPRBlocks: 0
; VGPRBlocks: 0
; NumSGPRsForWavesPerEU: 6
; NumVGPRsForWavesPerEU: 3
; NamedBarCnt: 0
; Occupancy: 16
; WaveLimiterHint : 0
; COMPUTE_PGM_RSRC2:SCRATCH_EN: 0
; COMPUTE_PGM_RSRC2:USER_SGPR: 2
; COMPUTE_PGM_RSRC2:TRAP_HANDLER: 0
; COMPUTE_PGM_RSRC2:TGID_X_EN: 1
; COMPUTE_PGM_RSRC2:TGID_Y_EN: 0
; COMPUTE_PGM_RSRC2:TGID_Z_EN: 0
; COMPUTE_PGM_RSRC2:TIDIG_COMP_CNT: 0
	.section	.text._Z17testOperationsGPUI15HIP_vector_typeIiLj2EES0_IiLj1EEEvPT_S4_i,"axG",@progbits,_Z17testOperationsGPUI15HIP_vector_typeIiLj2EES0_IiLj1EEEvPT_S4_i,comdat
	.protected	_Z17testOperationsGPUI15HIP_vector_typeIiLj2EES0_IiLj1EEEvPT_S4_i ; -- Begin function _Z17testOperationsGPUI15HIP_vector_typeIiLj2EES0_IiLj1EEEvPT_S4_i
	.globl	_Z17testOperationsGPUI15HIP_vector_typeIiLj2EES0_IiLj1EEEvPT_S4_i
	.p2align	8
	.type	_Z17testOperationsGPUI15HIP_vector_typeIiLj2EES0_IiLj1EEEvPT_S4_i,@function
_Z17testOperationsGPUI15HIP_vector_typeIiLj2EES0_IiLj1EEEvPT_S4_i: ; @_Z17testOperationsGPUI15HIP_vector_typeIiLj2EES0_IiLj1EEEvPT_S4_i
; %bb.0:
	s_load_b32 s2, s[0:1], 0x10
	s_wait_kmcnt 0x0
	v_cmp_ge_i32_e32 vcc_lo, s2, v0
	s_and_saveexec_b32 s2, vcc_lo
	s_cbranch_execz .LBB9_2
; %bb.1:
	s_load_b128 s[0:3], s[0:1], 0x0
	v_lshlrev_b32_e32 v0, 3, v0
	s_wait_kmcnt 0x0
	s_clause 0x1
	global_load_b32 v1, v0, s[2:3]
	global_load_b32 v2, v0, s[0:1]
	s_wait_loadcnt 0x0
	v_add3_u32 v1, v1, v2, 1
	s_clause 0x1
	global_store_b32 v0, v1, s[0:1]
	global_load_b32 v1, v0, s[2:3]
	s_wait_loadcnt 0x0
	v_add_nc_u32_e32 v1, 1, v1
	s_clause 0x2
	global_store_b32 v0, v1, s[0:1] offset:4
	global_load_b32 v2, v0, s[2:3] offset:4
	global_store_b32 v0, v1, s[2:3]
	s_wait_loadcnt 0x0
	global_store_b32 v0, v2, s[0:1]
.LBB9_2:
	s_endpgm
	.section	.rodata,"a",@progbits
	.p2align	6, 0x0
	.amdhsa_kernel _Z17testOperationsGPUI15HIP_vector_typeIiLj2EES0_IiLj1EEEvPT_S4_i
		.amdhsa_group_segment_fixed_size 0
		.amdhsa_private_segment_fixed_size 0
		.amdhsa_kernarg_size 20
		.amdhsa_user_sgpr_count 2
		.amdhsa_user_sgpr_dispatch_ptr 0
		.amdhsa_user_sgpr_queue_ptr 0
		.amdhsa_user_sgpr_kernarg_segment_ptr 1
		.amdhsa_user_sgpr_dispatch_id 0
		.amdhsa_user_sgpr_kernarg_preload_length 0
		.amdhsa_user_sgpr_kernarg_preload_offset 0
		.amdhsa_user_sgpr_private_segment_size 0
		.amdhsa_wavefront_size32 1
		.amdhsa_uses_dynamic_stack 0
		.amdhsa_enable_private_segment 0
		.amdhsa_system_sgpr_workgroup_id_x 1
		.amdhsa_system_sgpr_workgroup_id_y 0
		.amdhsa_system_sgpr_workgroup_id_z 0
		.amdhsa_system_sgpr_workgroup_info 0
		.amdhsa_system_vgpr_workitem_id 0
		.amdhsa_next_free_vgpr 3
		.amdhsa_next_free_sgpr 4
		.amdhsa_named_barrier_count 0
		.amdhsa_reserve_vcc 1
		.amdhsa_float_round_mode_32 0
		.amdhsa_float_round_mode_16_64 0
		.amdhsa_float_denorm_mode_32 3
		.amdhsa_float_denorm_mode_16_64 3
		.amdhsa_fp16_overflow 0
		.amdhsa_memory_ordered 1
		.amdhsa_forward_progress 1
		.amdhsa_inst_pref_size 2
		.amdhsa_round_robin_scheduling 0
		.amdhsa_exception_fp_ieee_invalid_op 0
		.amdhsa_exception_fp_denorm_src 0
		.amdhsa_exception_fp_ieee_div_zero 0
		.amdhsa_exception_fp_ieee_overflow 0
		.amdhsa_exception_fp_ieee_underflow 0
		.amdhsa_exception_fp_ieee_inexact 0
		.amdhsa_exception_int_div_zero 0
	.end_amdhsa_kernel
	.section	.text._Z17testOperationsGPUI15HIP_vector_typeIiLj2EES0_IiLj1EEEvPT_S4_i,"axG",@progbits,_Z17testOperationsGPUI15HIP_vector_typeIiLj2EES0_IiLj1EEEvPT_S4_i,comdat
.Lfunc_end9:
	.size	_Z17testOperationsGPUI15HIP_vector_typeIiLj2EES0_IiLj1EEEvPT_S4_i, .Lfunc_end9-_Z17testOperationsGPUI15HIP_vector_typeIiLj2EES0_IiLj1EEEvPT_S4_i
                                        ; -- End function
	.set _Z17testOperationsGPUI15HIP_vector_typeIiLj2EES0_IiLj1EEEvPT_S4_i.num_vgpr, 3
	.set _Z17testOperationsGPUI15HIP_vector_typeIiLj2EES0_IiLj1EEEvPT_S4_i.num_agpr, 0
	.set _Z17testOperationsGPUI15HIP_vector_typeIiLj2EES0_IiLj1EEEvPT_S4_i.numbered_sgpr, 4
	.set _Z17testOperationsGPUI15HIP_vector_typeIiLj2EES0_IiLj1EEEvPT_S4_i.num_named_barrier, 0
	.set _Z17testOperationsGPUI15HIP_vector_typeIiLj2EES0_IiLj1EEEvPT_S4_i.private_seg_size, 0
	.set _Z17testOperationsGPUI15HIP_vector_typeIiLj2EES0_IiLj1EEEvPT_S4_i.uses_vcc, 1
	.set _Z17testOperationsGPUI15HIP_vector_typeIiLj2EES0_IiLj1EEEvPT_S4_i.uses_flat_scratch, 0
	.set _Z17testOperationsGPUI15HIP_vector_typeIiLj2EES0_IiLj1EEEvPT_S4_i.has_dyn_sized_stack, 0
	.set _Z17testOperationsGPUI15HIP_vector_typeIiLj2EES0_IiLj1EEEvPT_S4_i.has_recursion, 0
	.set _Z17testOperationsGPUI15HIP_vector_typeIiLj2EES0_IiLj1EEEvPT_S4_i.has_indirect_call, 0
	.section	.AMDGPU.csdata,"",@progbits
; Kernel info:
; codeLenInByte = 176
; TotalNumSgprs: 6
; NumVgprs: 3
; ScratchSize: 0
; MemoryBound: 0
; FloatMode: 240
; IeeeMode: 1
; LDSByteSize: 0 bytes/workgroup (compile time only)
; SGPRBlocks: 0
; VGPRBlocks: 0
; NumSGPRsForWavesPerEU: 6
; NumVGPRsForWavesPerEU: 3
; NamedBarCnt: 0
; Occupancy: 16
; WaveLimiterHint : 0
; COMPUTE_PGM_RSRC2:SCRATCH_EN: 0
; COMPUTE_PGM_RSRC2:USER_SGPR: 2
; COMPUTE_PGM_RSRC2:TRAP_HANDLER: 0
; COMPUTE_PGM_RSRC2:TGID_X_EN: 1
; COMPUTE_PGM_RSRC2:TGID_Y_EN: 0
; COMPUTE_PGM_RSRC2:TGID_Z_EN: 0
; COMPUTE_PGM_RSRC2:TIDIG_COMP_CNT: 0
	.section	.text._Z17testOperationsGPUI15HIP_vector_typeIiLj3EES0_IiLj1EEEvPT_S4_i,"axG",@progbits,_Z17testOperationsGPUI15HIP_vector_typeIiLj3EES0_IiLj1EEEvPT_S4_i,comdat
	.protected	_Z17testOperationsGPUI15HIP_vector_typeIiLj3EES0_IiLj1EEEvPT_S4_i ; -- Begin function _Z17testOperationsGPUI15HIP_vector_typeIiLj3EES0_IiLj1EEEvPT_S4_i
	.globl	_Z17testOperationsGPUI15HIP_vector_typeIiLj3EES0_IiLj1EEEvPT_S4_i
	.p2align	8
	.type	_Z17testOperationsGPUI15HIP_vector_typeIiLj3EES0_IiLj1EEEvPT_S4_i,@function
_Z17testOperationsGPUI15HIP_vector_typeIiLj3EES0_IiLj1EEEvPT_S4_i: ; @_Z17testOperationsGPUI15HIP_vector_typeIiLj3EES0_IiLj1EEEvPT_S4_i
; %bb.0:
	s_load_b32 s2, s[0:1], 0x10
	s_wait_kmcnt 0x0
	v_cmp_ge_i32_e32 vcc_lo, s2, v0
	s_and_saveexec_b32 s2, vcc_lo
	s_cbranch_execz .LBB10_4
; %bb.1:
	s_load_b128 s[0:3], s[0:1], 0x0
	s_wait_kmcnt 0x0
	v_mad_nc_u64_u32 v[2:3], v0, 12, s[2:3]
	v_mad_nc_u64_u32 v[0:1], v0, 12, s[0:1]
	s_mov_b32 s0, exec_lo
	global_load_b32 v4, v[2:3], off
	global_load_b32 v5, v[0:1], off
	s_wait_loadcnt 0x0
	v_add3_u32 v4, v4, v5, 1
	global_store_b32 v[0:1], v4, off
	global_load_b32 v5, v[2:3], off
	s_wait_loadcnt 0x0
	v_add_nc_u32_e32 v6, 1, v5
	global_store_b32 v[0:1], v6, off offset:4
	s_clause 0x1
	global_load_b32 v4, v[2:3], off offset:4
	global_store_b32 v[2:3], v6, off
	s_wait_loadcnt 0x0
	global_store_b32 v[0:1], v4, off
	s_wait_xcnt 0x0
	v_cmpx_lt_i32_e32 0, v4
	s_cbranch_execz .LBB10_3
; %bb.2:
	global_load_b32 v6, v[2:3], off
	s_wait_loadcnt 0x0
	v_dual_sub_nc_u32 v7, 0, v4 :: v_dual_sub_nc_u32 v10, 0, v6
	s_delay_alu instid0(VALU_DEP_1) | instskip(SKIP_1) | instid1(VALU_DEP_2)
	v_max_i32_e32 v7, v4, v7
	v_xor_b32_e32 v4, v6, v4
	v_cvt_f32_u32_e32 v8, v7
	s_delay_alu instid0(VALU_DEP_1) | instskip(SKIP_1) | instid1(TRANS32_DEP_1)
	v_rcp_iflag_f32_e32 v8, v8
	v_nop
	v_dual_mul_f32 v8, 0x4f7ffffe, v8 :: v_dual_sub_nc_u32 v9, 0, v7
	s_delay_alu instid0(VALU_DEP_1) | instskip(NEXT) | instid1(VALU_DEP_1)
	v_cvt_u32_f32_e32 v8, v8
	v_mul_lo_u32 v9, v9, v8
	s_delay_alu instid0(VALU_DEP_1) | instskip(NEXT) | instid1(VALU_DEP_1)
	v_mul_hi_u32 v9, v8, v9
	v_dual_add_nc_u32 v8, v8, v9 :: v_dual_max_i32 v9, v6, v10
	s_delay_alu instid0(VALU_DEP_1) | instskip(NEXT) | instid1(VALU_DEP_1)
	v_mul_hi_u32 v8, v9, v8
	v_mul_lo_u32 v10, v8, v7
	s_delay_alu instid0(VALU_DEP_1) | instskip(NEXT) | instid1(VALU_DEP_1)
	v_dual_sub_nc_u32 v9, v9, v10 :: v_dual_add_nc_u32 v10, 1, v8
	v_cmp_ge_u32_e32 vcc_lo, v9, v7
	s_delay_alu instid0(VALU_DEP_2) | instskip(NEXT) | instid1(VALU_DEP_1)
	v_dual_cndmask_b32 v8, v8, v10 :: v_dual_sub_nc_u32 v11, v9, v7
	v_dual_cndmask_b32 v6, v9, v11 :: v_dual_add_nc_u32 v9, 1, v8
	s_delay_alu instid0(VALU_DEP_1) | instskip(NEXT) | instid1(VALU_DEP_2)
	v_cmp_ge_u32_e32 vcc_lo, v6, v7
	v_dual_ashrrev_i32 v4, 31, v4 :: v_dual_cndmask_b32 v6, v8, v9, vcc_lo
	s_delay_alu instid0(VALU_DEP_1) | instskip(NEXT) | instid1(VALU_DEP_1)
	v_xor_b32_e32 v6, v6, v4
	v_sub_nc_u32_e32 v4, v6, v4
	global_store_b32 v[2:3], v4, off
	global_load_b32 v4, v[0:1], off
.LBB10_3:
	s_wait_xcnt 0x0
	s_or_b32 exec_lo, exec_lo, s0
	global_load_b32 v2, v[2:3], off offset:8
	s_wait_loadcnt 0x0
	v_mul_lo_u32 v4, v2, v4
	global_store_b64 v[0:1], v[4:5], off
.LBB10_4:
	s_endpgm
	.section	.rodata,"a",@progbits
	.p2align	6, 0x0
	.amdhsa_kernel _Z17testOperationsGPUI15HIP_vector_typeIiLj3EES0_IiLj1EEEvPT_S4_i
		.amdhsa_group_segment_fixed_size 0
		.amdhsa_private_segment_fixed_size 0
		.amdhsa_kernarg_size 20
		.amdhsa_user_sgpr_count 2
		.amdhsa_user_sgpr_dispatch_ptr 0
		.amdhsa_user_sgpr_queue_ptr 0
		.amdhsa_user_sgpr_kernarg_segment_ptr 1
		.amdhsa_user_sgpr_dispatch_id 0
		.amdhsa_user_sgpr_kernarg_preload_length 0
		.amdhsa_user_sgpr_kernarg_preload_offset 0
		.amdhsa_user_sgpr_private_segment_size 0
		.amdhsa_wavefront_size32 1
		.amdhsa_uses_dynamic_stack 0
		.amdhsa_enable_private_segment 0
		.amdhsa_system_sgpr_workgroup_id_x 1
		.amdhsa_system_sgpr_workgroup_id_y 0
		.amdhsa_system_sgpr_workgroup_id_z 0
		.amdhsa_system_sgpr_workgroup_info 0
		.amdhsa_system_vgpr_workitem_id 0
		.amdhsa_next_free_vgpr 12
		.amdhsa_next_free_sgpr 4
		.amdhsa_named_barrier_count 0
		.amdhsa_reserve_vcc 1
		.amdhsa_float_round_mode_32 0
		.amdhsa_float_round_mode_16_64 0
		.amdhsa_float_denorm_mode_32 3
		.amdhsa_float_denorm_mode_16_64 3
		.amdhsa_fp16_overflow 0
		.amdhsa_memory_ordered 1
		.amdhsa_forward_progress 1
		.amdhsa_inst_pref_size 4
		.amdhsa_round_robin_scheduling 0
		.amdhsa_exception_fp_ieee_invalid_op 0
		.amdhsa_exception_fp_denorm_src 0
		.amdhsa_exception_fp_ieee_div_zero 0
		.amdhsa_exception_fp_ieee_overflow 0
		.amdhsa_exception_fp_ieee_underflow 0
		.amdhsa_exception_fp_ieee_inexact 0
		.amdhsa_exception_int_div_zero 0
	.end_amdhsa_kernel
	.section	.text._Z17testOperationsGPUI15HIP_vector_typeIiLj3EES0_IiLj1EEEvPT_S4_i,"axG",@progbits,_Z17testOperationsGPUI15HIP_vector_typeIiLj3EES0_IiLj1EEEvPT_S4_i,comdat
.Lfunc_end10:
	.size	_Z17testOperationsGPUI15HIP_vector_typeIiLj3EES0_IiLj1EEEvPT_S4_i, .Lfunc_end10-_Z17testOperationsGPUI15HIP_vector_typeIiLj3EES0_IiLj1EEEvPT_S4_i
                                        ; -- End function
	.set _Z17testOperationsGPUI15HIP_vector_typeIiLj3EES0_IiLj1EEEvPT_S4_i.num_vgpr, 12
	.set _Z17testOperationsGPUI15HIP_vector_typeIiLj3EES0_IiLj1EEEvPT_S4_i.num_agpr, 0
	.set _Z17testOperationsGPUI15HIP_vector_typeIiLj3EES0_IiLj1EEEvPT_S4_i.numbered_sgpr, 4
	.set _Z17testOperationsGPUI15HIP_vector_typeIiLj3EES0_IiLj1EEEvPT_S4_i.num_named_barrier, 0
	.set _Z17testOperationsGPUI15HIP_vector_typeIiLj3EES0_IiLj1EEEvPT_S4_i.private_seg_size, 0
	.set _Z17testOperationsGPUI15HIP_vector_typeIiLj3EES0_IiLj1EEEvPT_S4_i.uses_vcc, 1
	.set _Z17testOperationsGPUI15HIP_vector_typeIiLj3EES0_IiLj1EEEvPT_S4_i.uses_flat_scratch, 0
	.set _Z17testOperationsGPUI15HIP_vector_typeIiLj3EES0_IiLj1EEEvPT_S4_i.has_dyn_sized_stack, 0
	.set _Z17testOperationsGPUI15HIP_vector_typeIiLj3EES0_IiLj1EEEvPT_S4_i.has_recursion, 0
	.set _Z17testOperationsGPUI15HIP_vector_typeIiLj3EES0_IiLj1EEEvPT_S4_i.has_indirect_call, 0
	.section	.AMDGPU.csdata,"",@progbits
; Kernel info:
; codeLenInByte = 464
; TotalNumSgprs: 6
; NumVgprs: 12
; ScratchSize: 0
; MemoryBound: 0
; FloatMode: 240
; IeeeMode: 1
; LDSByteSize: 0 bytes/workgroup (compile time only)
; SGPRBlocks: 0
; VGPRBlocks: 0
; NumSGPRsForWavesPerEU: 6
; NumVGPRsForWavesPerEU: 12
; NamedBarCnt: 0
; Occupancy: 16
; WaveLimiterHint : 0
; COMPUTE_PGM_RSRC2:SCRATCH_EN: 0
; COMPUTE_PGM_RSRC2:USER_SGPR: 2
; COMPUTE_PGM_RSRC2:TRAP_HANDLER: 0
; COMPUTE_PGM_RSRC2:TGID_X_EN: 1
; COMPUTE_PGM_RSRC2:TGID_Y_EN: 0
; COMPUTE_PGM_RSRC2:TGID_Z_EN: 0
; COMPUTE_PGM_RSRC2:TIDIG_COMP_CNT: 0
	.section	.text._Z17testOperationsGPUI15HIP_vector_typeIiLj4EES0_IiLj1EEEvPT_S4_i,"axG",@progbits,_Z17testOperationsGPUI15HIP_vector_typeIiLj4EES0_IiLj1EEEvPT_S4_i,comdat
	.protected	_Z17testOperationsGPUI15HIP_vector_typeIiLj4EES0_IiLj1EEEvPT_S4_i ; -- Begin function _Z17testOperationsGPUI15HIP_vector_typeIiLj4EES0_IiLj1EEEvPT_S4_i
	.globl	_Z17testOperationsGPUI15HIP_vector_typeIiLj4EES0_IiLj1EEEvPT_S4_i
	.p2align	8
	.type	_Z17testOperationsGPUI15HIP_vector_typeIiLj4EES0_IiLj1EEEvPT_S4_i,@function
_Z17testOperationsGPUI15HIP_vector_typeIiLj4EES0_IiLj1EEEvPT_S4_i: ; @_Z17testOperationsGPUI15HIP_vector_typeIiLj4EES0_IiLj1EEEvPT_S4_i
; %bb.0:
	s_load_b32 s2, s[0:1], 0x10
	s_wait_kmcnt 0x0
	v_cmp_ge_i32_e32 vcc_lo, s2, v0
	s_and_saveexec_b32 s2, vcc_lo
	s_cbranch_execz .LBB11_4
; %bb.1:
	s_load_b128 s[0:3], s[0:1], 0x0
	v_dual_mov_b32 v7, 0 :: v_dual_lshlrev_b32 v6, 4, v0
	s_wait_kmcnt 0x0
	s_clause 0x1
	global_load_b32 v0, v6, s[2:3]
	global_load_b32 v1, v6, s[0:1]
	s_wait_loadcnt 0x0
	v_add3_u32 v0, v0, v1, 1
	s_clause 0x1
	global_store_b32 v6, v0, s[0:1]
	global_load_b32 v1, v6, s[2:3]
	s_wait_loadcnt 0x0
	v_add_nc_u32_e32 v8, 1, v1
	v_add_nc_u64_e32 v[2:3], s[0:1], v[6:7]
	v_add_nc_u64_e32 v[4:5], s[2:3], v[6:7]
	s_clause 0x2
	global_store_b32 v6, v8, s[0:1] offset:4
	global_load_b32 v0, v6, s[2:3] offset:4
	global_store_b32 v6, v8, s[2:3]
	s_wait_loadcnt 0x0
	global_store_b32 v6, v0, s[0:1]
	s_wait_xcnt 0x0
	s_mov_b32 s0, exec_lo
	v_cmpx_lt_i32_e32 0, v0
	s_cbranch_execz .LBB11_3
; %bb.2:
	global_load_b32 v6, v[4:5], off
	s_wait_loadcnt 0x0
	v_dual_sub_nc_u32 v7, 0, v0 :: v_dual_sub_nc_u32 v10, 0, v6
	s_delay_alu instid0(VALU_DEP_1) | instskip(SKIP_1) | instid1(VALU_DEP_2)
	v_max_i32_e32 v7, v0, v7
	v_xor_b32_e32 v0, v6, v0
	v_cvt_f32_u32_e32 v8, v7
	s_delay_alu instid0(VALU_DEP_1) | instskip(SKIP_1) | instid1(TRANS32_DEP_1)
	v_rcp_iflag_f32_e32 v8, v8
	v_nop
	v_dual_mul_f32 v8, 0x4f7ffffe, v8 :: v_dual_sub_nc_u32 v9, 0, v7
	s_delay_alu instid0(VALU_DEP_1) | instskip(NEXT) | instid1(VALU_DEP_1)
	v_cvt_u32_f32_e32 v8, v8
	v_mul_lo_u32 v9, v9, v8
	s_delay_alu instid0(VALU_DEP_1) | instskip(NEXT) | instid1(VALU_DEP_1)
	v_mul_hi_u32 v9, v8, v9
	v_dual_add_nc_u32 v8, v8, v9 :: v_dual_max_i32 v9, v6, v10
	s_delay_alu instid0(VALU_DEP_1) | instskip(NEXT) | instid1(VALU_DEP_1)
	v_mul_hi_u32 v8, v9, v8
	v_mul_lo_u32 v10, v8, v7
	s_delay_alu instid0(VALU_DEP_1) | instskip(NEXT) | instid1(VALU_DEP_1)
	v_dual_sub_nc_u32 v9, v9, v10 :: v_dual_add_nc_u32 v10, 1, v8
	v_cmp_ge_u32_e32 vcc_lo, v9, v7
	s_delay_alu instid0(VALU_DEP_2) | instskip(NEXT) | instid1(VALU_DEP_1)
	v_dual_cndmask_b32 v8, v8, v10 :: v_dual_sub_nc_u32 v11, v9, v7
	v_dual_cndmask_b32 v6, v9, v11 :: v_dual_add_nc_u32 v9, 1, v8
	s_delay_alu instid0(VALU_DEP_1) | instskip(NEXT) | instid1(VALU_DEP_2)
	v_cmp_ge_u32_e32 vcc_lo, v6, v7
	v_dual_ashrrev_i32 v0, 31, v0 :: v_dual_cndmask_b32 v6, v8, v9, vcc_lo
	s_delay_alu instid0(VALU_DEP_1) | instskip(NEXT) | instid1(VALU_DEP_1)
	v_xor_b32_e32 v6, v6, v0
	v_sub_nc_u32_e32 v0, v6, v0
	global_store_b32 v[4:5], v0, off
	global_load_b32 v0, v[2:3], off
.LBB11_3:
	s_wait_xcnt 0x0
	s_or_b32 exec_lo, exec_lo, s0
	global_load_b32 v6, v[4:5], off offset:8
	s_wait_loadcnt 0x0
	v_mul_lo_u32 v0, v6, v0
	global_store_b64 v[2:3], v[0:1], off
	s_clause 0x1
	global_store_b32 v[4:5], v0, off offset:12
	global_load_b32 v0, v[4:5], off offset:4
	global_load_b32 v1, v[2:3], off offset:12
	s_wait_loadcnt 0x0
	v_sub_nc_u32_e32 v0, v1, v0
	global_store_b32 v[2:3], v0, off offset:12
.LBB11_4:
	s_endpgm
	.section	.rodata,"a",@progbits
	.p2align	6, 0x0
	.amdhsa_kernel _Z17testOperationsGPUI15HIP_vector_typeIiLj4EES0_IiLj1EEEvPT_S4_i
		.amdhsa_group_segment_fixed_size 0
		.amdhsa_private_segment_fixed_size 0
		.amdhsa_kernarg_size 20
		.amdhsa_user_sgpr_count 2
		.amdhsa_user_sgpr_dispatch_ptr 0
		.amdhsa_user_sgpr_queue_ptr 0
		.amdhsa_user_sgpr_kernarg_segment_ptr 1
		.amdhsa_user_sgpr_dispatch_id 0
		.amdhsa_user_sgpr_kernarg_preload_length 0
		.amdhsa_user_sgpr_kernarg_preload_offset 0
		.amdhsa_user_sgpr_private_segment_size 0
		.amdhsa_wavefront_size32 1
		.amdhsa_uses_dynamic_stack 0
		.amdhsa_enable_private_segment 0
		.amdhsa_system_sgpr_workgroup_id_x 1
		.amdhsa_system_sgpr_workgroup_id_y 0
		.amdhsa_system_sgpr_workgroup_id_z 0
		.amdhsa_system_sgpr_workgroup_info 0
		.amdhsa_system_vgpr_workitem_id 0
		.amdhsa_next_free_vgpr 12
		.amdhsa_next_free_sgpr 4
		.amdhsa_named_barrier_count 0
		.amdhsa_reserve_vcc 1
		.amdhsa_float_round_mode_32 0
		.amdhsa_float_round_mode_16_64 0
		.amdhsa_float_denorm_mode_32 3
		.amdhsa_float_denorm_mode_16_64 3
		.amdhsa_fp16_overflow 0
		.amdhsa_memory_ordered 1
		.amdhsa_forward_progress 1
		.amdhsa_inst_pref_size 5
		.amdhsa_round_robin_scheduling 0
		.amdhsa_exception_fp_ieee_invalid_op 0
		.amdhsa_exception_fp_denorm_src 0
		.amdhsa_exception_fp_ieee_div_zero 0
		.amdhsa_exception_fp_ieee_overflow 0
		.amdhsa_exception_fp_ieee_underflow 0
		.amdhsa_exception_fp_ieee_inexact 0
		.amdhsa_exception_int_div_zero 0
	.end_amdhsa_kernel
	.section	.text._Z17testOperationsGPUI15HIP_vector_typeIiLj4EES0_IiLj1EEEvPT_S4_i,"axG",@progbits,_Z17testOperationsGPUI15HIP_vector_typeIiLj4EES0_IiLj1EEEvPT_S4_i,comdat
.Lfunc_end11:
	.size	_Z17testOperationsGPUI15HIP_vector_typeIiLj4EES0_IiLj1EEEvPT_S4_i, .Lfunc_end11-_Z17testOperationsGPUI15HIP_vector_typeIiLj4EES0_IiLj1EEEvPT_S4_i
                                        ; -- End function
	.set _Z17testOperationsGPUI15HIP_vector_typeIiLj4EES0_IiLj1EEEvPT_S4_i.num_vgpr, 12
	.set _Z17testOperationsGPUI15HIP_vector_typeIiLj4EES0_IiLj1EEEvPT_S4_i.num_agpr, 0
	.set _Z17testOperationsGPUI15HIP_vector_typeIiLj4EES0_IiLj1EEEvPT_S4_i.numbered_sgpr, 4
	.set _Z17testOperationsGPUI15HIP_vector_typeIiLj4EES0_IiLj1EEEvPT_S4_i.num_named_barrier, 0
	.set _Z17testOperationsGPUI15HIP_vector_typeIiLj4EES0_IiLj1EEEvPT_S4_i.private_seg_size, 0
	.set _Z17testOperationsGPUI15HIP_vector_typeIiLj4EES0_IiLj1EEEvPT_S4_i.uses_vcc, 1
	.set _Z17testOperationsGPUI15HIP_vector_typeIiLj4EES0_IiLj1EEEvPT_S4_i.uses_flat_scratch, 0
	.set _Z17testOperationsGPUI15HIP_vector_typeIiLj4EES0_IiLj1EEEvPT_S4_i.has_dyn_sized_stack, 0
	.set _Z17testOperationsGPUI15HIP_vector_typeIiLj4EES0_IiLj1EEEvPT_S4_i.has_recursion, 0
	.set _Z17testOperationsGPUI15HIP_vector_typeIiLj4EES0_IiLj1EEEvPT_S4_i.has_indirect_call, 0
	.section	.AMDGPU.csdata,"",@progbits
; Kernel info:
; codeLenInByte = 532
; TotalNumSgprs: 6
; NumVgprs: 12
; ScratchSize: 0
; MemoryBound: 0
; FloatMode: 240
; IeeeMode: 1
; LDSByteSize: 0 bytes/workgroup (compile time only)
; SGPRBlocks: 0
; VGPRBlocks: 0
; NumSGPRsForWavesPerEU: 6
; NumVGPRsForWavesPerEU: 12
; NamedBarCnt: 0
; Occupancy: 16
; WaveLimiterHint : 0
; COMPUTE_PGM_RSRC2:SCRATCH_EN: 0
; COMPUTE_PGM_RSRC2:USER_SGPR: 2
; COMPUTE_PGM_RSRC2:TRAP_HANDLER: 0
; COMPUTE_PGM_RSRC2:TGID_X_EN: 1
; COMPUTE_PGM_RSRC2:TGID_Y_EN: 0
; COMPUTE_PGM_RSRC2:TGID_Z_EN: 0
; COMPUTE_PGM_RSRC2:TIDIG_COMP_CNT: 0
	.section	.text._Z17testOperationsGPUI15HIP_vector_typeIcLj1EES1_EvPT_S3_i,"axG",@progbits,_Z17testOperationsGPUI15HIP_vector_typeIcLj1EES1_EvPT_S3_i,comdat
	.protected	_Z17testOperationsGPUI15HIP_vector_typeIcLj1EES1_EvPT_S3_i ; -- Begin function _Z17testOperationsGPUI15HIP_vector_typeIcLj1EES1_EvPT_S3_i
	.globl	_Z17testOperationsGPUI15HIP_vector_typeIcLj1EES1_EvPT_S3_i
	.p2align	8
	.type	_Z17testOperationsGPUI15HIP_vector_typeIcLj1EES1_EvPT_S3_i,@function
_Z17testOperationsGPUI15HIP_vector_typeIcLj1EES1_EvPT_S3_i: ; @_Z17testOperationsGPUI15HIP_vector_typeIcLj1EES1_EvPT_S3_i
; %bb.0:
	s_load_b32 s2, s[0:1], 0x10
	s_wait_kmcnt 0x0
	v_cmp_ge_i32_e32 vcc_lo, s2, v0
	s_and_saveexec_b32 s2, vcc_lo
	s_cbranch_execz .LBB12_2
; %bb.1:
	s_load_b128 s[0:3], s[0:1], 0x0
	s_wait_kmcnt 0x0
	s_clause 0x1
	global_load_u8 v1, v0, s[2:3]
	global_load_u8 v2, v0, s[0:1]
	s_wait_loadcnt 0x0
	v_add_nc_u16 v1, v1, v2
	s_delay_alu instid0(VALU_DEP_1)
	v_add_nc_u16 v1, v1, 1
	s_clause 0x1
	global_store_b8 v0, v1, s[0:1]
	global_load_u8 v1, v0, s[2:3]
	s_wait_loadcnt 0x0
	v_add_nc_u16 v1, v1, 1
	global_store_b8 v0, v1, s[2:3]
.LBB12_2:
	s_endpgm
	.section	.rodata,"a",@progbits
	.p2align	6, 0x0
	.amdhsa_kernel _Z17testOperationsGPUI15HIP_vector_typeIcLj1EES1_EvPT_S3_i
		.amdhsa_group_segment_fixed_size 0
		.amdhsa_private_segment_fixed_size 0
		.amdhsa_kernarg_size 20
		.amdhsa_user_sgpr_count 2
		.amdhsa_user_sgpr_dispatch_ptr 0
		.amdhsa_user_sgpr_queue_ptr 0
		.amdhsa_user_sgpr_kernarg_segment_ptr 1
		.amdhsa_user_sgpr_dispatch_id 0
		.amdhsa_user_sgpr_kernarg_preload_length 0
		.amdhsa_user_sgpr_kernarg_preload_offset 0
		.amdhsa_user_sgpr_private_segment_size 0
		.amdhsa_wavefront_size32 1
		.amdhsa_uses_dynamic_stack 0
		.amdhsa_enable_private_segment 0
		.amdhsa_system_sgpr_workgroup_id_x 1
		.amdhsa_system_sgpr_workgroup_id_y 0
		.amdhsa_system_sgpr_workgroup_id_z 0
		.amdhsa_system_sgpr_workgroup_info 0
		.amdhsa_system_vgpr_workitem_id 0
		.amdhsa_next_free_vgpr 3
		.amdhsa_next_free_sgpr 4
		.amdhsa_named_barrier_count 0
		.amdhsa_reserve_vcc 1
		.amdhsa_float_round_mode_32 0
		.amdhsa_float_round_mode_16_64 0
		.amdhsa_float_denorm_mode_32 3
		.amdhsa_float_denorm_mode_16_64 3
		.amdhsa_fp16_overflow 0
		.amdhsa_memory_ordered 1
		.amdhsa_forward_progress 1
		.amdhsa_inst_pref_size 2
		.amdhsa_round_robin_scheduling 0
		.amdhsa_exception_fp_ieee_invalid_op 0
		.amdhsa_exception_fp_denorm_src 0
		.amdhsa_exception_fp_ieee_div_zero 0
		.amdhsa_exception_fp_ieee_overflow 0
		.amdhsa_exception_fp_ieee_underflow 0
		.amdhsa_exception_fp_ieee_inexact 0
		.amdhsa_exception_int_div_zero 0
	.end_amdhsa_kernel
	.section	.text._Z17testOperationsGPUI15HIP_vector_typeIcLj1EES1_EvPT_S3_i,"axG",@progbits,_Z17testOperationsGPUI15HIP_vector_typeIcLj1EES1_EvPT_S3_i,comdat
.Lfunc_end12:
	.size	_Z17testOperationsGPUI15HIP_vector_typeIcLj1EES1_EvPT_S3_i, .Lfunc_end12-_Z17testOperationsGPUI15HIP_vector_typeIcLj1EES1_EvPT_S3_i
                                        ; -- End function
	.set _Z17testOperationsGPUI15HIP_vector_typeIcLj1EES1_EvPT_S3_i.num_vgpr, 3
	.set _Z17testOperationsGPUI15HIP_vector_typeIcLj1EES1_EvPT_S3_i.num_agpr, 0
	.set _Z17testOperationsGPUI15HIP_vector_typeIcLj1EES1_EvPT_S3_i.numbered_sgpr, 4
	.set _Z17testOperationsGPUI15HIP_vector_typeIcLj1EES1_EvPT_S3_i.num_named_barrier, 0
	.set _Z17testOperationsGPUI15HIP_vector_typeIcLj1EES1_EvPT_S3_i.private_seg_size, 0
	.set _Z17testOperationsGPUI15HIP_vector_typeIcLj1EES1_EvPT_S3_i.uses_vcc, 1
	.set _Z17testOperationsGPUI15HIP_vector_typeIcLj1EES1_EvPT_S3_i.uses_flat_scratch, 0
	.set _Z17testOperationsGPUI15HIP_vector_typeIcLj1EES1_EvPT_S3_i.has_dyn_sized_stack, 0
	.set _Z17testOperationsGPUI15HIP_vector_typeIcLj1EES1_EvPT_S3_i.has_recursion, 0
	.set _Z17testOperationsGPUI15HIP_vector_typeIcLj1EES1_EvPT_S3_i.has_indirect_call, 0
	.section	.AMDGPU.csdata,"",@progbits
; Kernel info:
; codeLenInByte = 144
; TotalNumSgprs: 6
; NumVgprs: 3
; ScratchSize: 0
; MemoryBound: 0
; FloatMode: 240
; IeeeMode: 1
; LDSByteSize: 0 bytes/workgroup (compile time only)
; SGPRBlocks: 0
; VGPRBlocks: 0
; NumSGPRsForWavesPerEU: 6
; NumVGPRsForWavesPerEU: 3
; NamedBarCnt: 0
; Occupancy: 16
; WaveLimiterHint : 0
; COMPUTE_PGM_RSRC2:SCRATCH_EN: 0
; COMPUTE_PGM_RSRC2:USER_SGPR: 2
; COMPUTE_PGM_RSRC2:TRAP_HANDLER: 0
; COMPUTE_PGM_RSRC2:TGID_X_EN: 1
; COMPUTE_PGM_RSRC2:TGID_Y_EN: 0
; COMPUTE_PGM_RSRC2:TGID_Z_EN: 0
; COMPUTE_PGM_RSRC2:TIDIG_COMP_CNT: 0
	.section	.text._Z17testOperationsGPUI15HIP_vector_typeIcLj2EES0_IcLj1EEEvPT_S4_i,"axG",@progbits,_Z17testOperationsGPUI15HIP_vector_typeIcLj2EES0_IcLj1EEEvPT_S4_i,comdat
	.protected	_Z17testOperationsGPUI15HIP_vector_typeIcLj2EES0_IcLj1EEEvPT_S4_i ; -- Begin function _Z17testOperationsGPUI15HIP_vector_typeIcLj2EES0_IcLj1EEEvPT_S4_i
	.globl	_Z17testOperationsGPUI15HIP_vector_typeIcLj2EES0_IcLj1EEEvPT_S4_i
	.p2align	8
	.type	_Z17testOperationsGPUI15HIP_vector_typeIcLj2EES0_IcLj1EEEvPT_S4_i,@function
_Z17testOperationsGPUI15HIP_vector_typeIcLj2EES0_IcLj1EEEvPT_S4_i: ; @_Z17testOperationsGPUI15HIP_vector_typeIcLj2EES0_IcLj1EEEvPT_S4_i
; %bb.0:
	s_load_b32 s2, s[0:1], 0x10
	s_wait_kmcnt 0x0
	v_cmp_ge_i32_e32 vcc_lo, s2, v0
	s_and_saveexec_b32 s2, vcc_lo
	s_cbranch_execz .LBB13_2
; %bb.1:
	s_load_b128 s[0:3], s[0:1], 0x0
	v_lshlrev_b32_e32 v0, 1, v0
	s_wait_kmcnt 0x0
	s_clause 0x1
	global_load_u8 v1, v0, s[2:3]
	global_load_u8 v2, v0, s[0:1]
	s_wait_loadcnt 0x0
	v_add_nc_u16 v1, v1, v2
	s_delay_alu instid0(VALU_DEP_1)
	v_add_nc_u16 v1, v1, 1
	s_clause 0x1
	global_store_b8 v0, v1, s[0:1]
	global_load_u8 v1, v0, s[2:3]
	s_wait_loadcnt 0x0
	v_add_nc_u16 v1, v1, 1
	s_clause 0x2
	global_store_b8 v0, v1, s[0:1] offset:1
	global_load_u8 v2, v0, s[2:3] offset:1
	global_store_b8 v0, v1, s[2:3]
	s_wait_loadcnt 0x0
	global_store_b8 v0, v2, s[0:1]
.LBB13_2:
	s_endpgm
	.section	.rodata,"a",@progbits
	.p2align	6, 0x0
	.amdhsa_kernel _Z17testOperationsGPUI15HIP_vector_typeIcLj2EES0_IcLj1EEEvPT_S4_i
		.amdhsa_group_segment_fixed_size 0
		.amdhsa_private_segment_fixed_size 0
		.amdhsa_kernarg_size 20
		.amdhsa_user_sgpr_count 2
		.amdhsa_user_sgpr_dispatch_ptr 0
		.amdhsa_user_sgpr_queue_ptr 0
		.amdhsa_user_sgpr_kernarg_segment_ptr 1
		.amdhsa_user_sgpr_dispatch_id 0
		.amdhsa_user_sgpr_kernarg_preload_length 0
		.amdhsa_user_sgpr_kernarg_preload_offset 0
		.amdhsa_user_sgpr_private_segment_size 0
		.amdhsa_wavefront_size32 1
		.amdhsa_uses_dynamic_stack 0
		.amdhsa_enable_private_segment 0
		.amdhsa_system_sgpr_workgroup_id_x 1
		.amdhsa_system_sgpr_workgroup_id_y 0
		.amdhsa_system_sgpr_workgroup_id_z 0
		.amdhsa_system_sgpr_workgroup_info 0
		.amdhsa_system_vgpr_workitem_id 0
		.amdhsa_next_free_vgpr 3
		.amdhsa_next_free_sgpr 4
		.amdhsa_named_barrier_count 0
		.amdhsa_reserve_vcc 1
		.amdhsa_float_round_mode_32 0
		.amdhsa_float_round_mode_16_64 0
		.amdhsa_float_denorm_mode_32 3
		.amdhsa_float_denorm_mode_16_64 3
		.amdhsa_fp16_overflow 0
		.amdhsa_memory_ordered 1
		.amdhsa_forward_progress 1
		.amdhsa_inst_pref_size 2
		.amdhsa_round_robin_scheduling 0
		.amdhsa_exception_fp_ieee_invalid_op 0
		.amdhsa_exception_fp_denorm_src 0
		.amdhsa_exception_fp_ieee_div_zero 0
		.amdhsa_exception_fp_ieee_overflow 0
		.amdhsa_exception_fp_ieee_underflow 0
		.amdhsa_exception_fp_ieee_inexact 0
		.amdhsa_exception_int_div_zero 0
	.end_amdhsa_kernel
	.section	.text._Z17testOperationsGPUI15HIP_vector_typeIcLj2EES0_IcLj1EEEvPT_S4_i,"axG",@progbits,_Z17testOperationsGPUI15HIP_vector_typeIcLj2EES0_IcLj1EEEvPT_S4_i,comdat
.Lfunc_end13:
	.size	_Z17testOperationsGPUI15HIP_vector_typeIcLj2EES0_IcLj1EEEvPT_S4_i, .Lfunc_end13-_Z17testOperationsGPUI15HIP_vector_typeIcLj2EES0_IcLj1EEEvPT_S4_i
                                        ; -- End function
	.set _Z17testOperationsGPUI15HIP_vector_typeIcLj2EES0_IcLj1EEEvPT_S4_i.num_vgpr, 3
	.set _Z17testOperationsGPUI15HIP_vector_typeIcLj2EES0_IcLj1EEEvPT_S4_i.num_agpr, 0
	.set _Z17testOperationsGPUI15HIP_vector_typeIcLj2EES0_IcLj1EEEvPT_S4_i.numbered_sgpr, 4
	.set _Z17testOperationsGPUI15HIP_vector_typeIcLj2EES0_IcLj1EEEvPT_S4_i.num_named_barrier, 0
	.set _Z17testOperationsGPUI15HIP_vector_typeIcLj2EES0_IcLj1EEEvPT_S4_i.private_seg_size, 0
	.set _Z17testOperationsGPUI15HIP_vector_typeIcLj2EES0_IcLj1EEEvPT_S4_i.uses_vcc, 1
	.set _Z17testOperationsGPUI15HIP_vector_typeIcLj2EES0_IcLj1EEEvPT_S4_i.uses_flat_scratch, 0
	.set _Z17testOperationsGPUI15HIP_vector_typeIcLj2EES0_IcLj1EEEvPT_S4_i.has_dyn_sized_stack, 0
	.set _Z17testOperationsGPUI15HIP_vector_typeIcLj2EES0_IcLj1EEEvPT_S4_i.has_recursion, 0
	.set _Z17testOperationsGPUI15HIP_vector_typeIcLj2EES0_IcLj1EEEvPT_S4_i.has_indirect_call, 0
	.section	.AMDGPU.csdata,"",@progbits
; Kernel info:
; codeLenInByte = 192
; TotalNumSgprs: 6
; NumVgprs: 3
; ScratchSize: 0
; MemoryBound: 0
; FloatMode: 240
; IeeeMode: 1
; LDSByteSize: 0 bytes/workgroup (compile time only)
; SGPRBlocks: 0
; VGPRBlocks: 0
; NumSGPRsForWavesPerEU: 6
; NumVGPRsForWavesPerEU: 3
; NamedBarCnt: 0
; Occupancy: 16
; WaveLimiterHint : 0
; COMPUTE_PGM_RSRC2:SCRATCH_EN: 0
; COMPUTE_PGM_RSRC2:USER_SGPR: 2
; COMPUTE_PGM_RSRC2:TRAP_HANDLER: 0
; COMPUTE_PGM_RSRC2:TGID_X_EN: 1
; COMPUTE_PGM_RSRC2:TGID_Y_EN: 0
; COMPUTE_PGM_RSRC2:TGID_Z_EN: 0
; COMPUTE_PGM_RSRC2:TIDIG_COMP_CNT: 0
	.section	.text._Z17testOperationsGPUI15HIP_vector_typeIcLj3EES0_IcLj1EEEvPT_S4_i,"axG",@progbits,_Z17testOperationsGPUI15HIP_vector_typeIcLj3EES0_IcLj1EEEvPT_S4_i,comdat
	.protected	_Z17testOperationsGPUI15HIP_vector_typeIcLj3EES0_IcLj1EEEvPT_S4_i ; -- Begin function _Z17testOperationsGPUI15HIP_vector_typeIcLj3EES0_IcLj1EEEvPT_S4_i
	.globl	_Z17testOperationsGPUI15HIP_vector_typeIcLj3EES0_IcLj1EEEvPT_S4_i
	.p2align	8
	.type	_Z17testOperationsGPUI15HIP_vector_typeIcLj3EES0_IcLj1EEEvPT_S4_i,@function
_Z17testOperationsGPUI15HIP_vector_typeIcLj3EES0_IcLj1EEEvPT_S4_i: ; @_Z17testOperationsGPUI15HIP_vector_typeIcLj3EES0_IcLj1EEEvPT_S4_i
; %bb.0:
	s_load_b32 s2, s[0:1], 0x10
	s_wait_kmcnt 0x0
	v_cmp_ge_i32_e32 vcc_lo, s2, v0
	s_and_saveexec_b32 s2, vcc_lo
	s_cbranch_execz .LBB14_4
; %bb.1:
	s_load_b128 s[0:3], s[0:1], 0x0
	s_wait_kmcnt 0x0
	v_mad_nc_u64_u32 v[2:3], v0, 3, s[2:3]
	v_mad_nc_u64_u32 v[0:1], v0, 3, s[0:1]
	s_mov_b32 s0, exec_lo
	global_load_u8 v4, v[2:3], off
	global_load_u8 v5, v[0:1], off
	s_wait_loadcnt 0x0
	v_add_nc_u16 v4, v4, v5
	s_delay_alu instid0(VALU_DEP_1)
	v_add_nc_u16 v4, v4, 1
	global_store_b8 v[0:1], v4, off
	global_load_u8 v4, v[2:3], off
	s_wait_loadcnt 0x0
	v_add_nc_u16 v6, v4, 1
	global_store_b8 v[0:1], v6, off offset:1
	s_clause 0x1
	global_load_i8 v5, v[2:3], off offset:1
	global_store_b8 v[2:3], v6, off
	s_wait_loadcnt 0x0
	global_store_b8 v[0:1], v5, off
	s_wait_xcnt 0x0
	v_cmpx_lt_i16_e32 0, v5
	s_cbranch_execz .LBB14_3
; %bb.2:
	global_load_i8 v6, v[2:3], off
	v_bfe_i32 v5, v5, 0, 16
	s_delay_alu instid0(VALU_DEP_1) | instskip(NEXT) | instid1(VALU_DEP_1)
	v_cvt_f32_i32_e32 v7, v5
	v_rcp_iflag_f32_e32 v8, v7
	s_wait_loadcnt 0x0
	v_cvt_f32_i32_e32 v9, v6
	s_delay_alu instid0(TRANS32_DEP_1) | instid1(VALU_DEP_1)
	v_dual_mul_f32 v8, v9, v8 :: v_dual_bitop2_b32 v5, v6, v5 bitop3:0x14
	s_delay_alu instid0(VALU_DEP_1) | instskip(NEXT) | instid1(VALU_DEP_1)
	v_trunc_f32_e32 v6, v8
	v_dual_ashrrev_i32 v5, 30, v5 :: v_dual_fma_f32 v8, -v6, v7, v9
	s_delay_alu instid0(VALU_DEP_1) | instskip(SKIP_1) | instid1(VALU_DEP_3)
	v_or_b32_e32 v5, 1, v5
	v_cvt_i32_f32_e32 v6, v6
	v_cmp_ge_f32_e64 vcc_lo, |v8|, |v7|
	s_delay_alu instid0(VALU_DEP_3) | instskip(NEXT) | instid1(VALU_DEP_1)
	v_cndmask_b32_e32 v5, 0, v5, vcc_lo
	v_add_nc_u32_e32 v5, v6, v5
	global_store_b8 v[2:3], v5, off
	global_load_u8 v5, v[0:1], off
.LBB14_3:
	s_wait_xcnt 0x0
	s_or_b32 exec_lo, exec_lo, s0
	global_load_u8 v2, v[2:3], off offset:2
	s_wait_xcnt 0x0
	v_lshlrev_b16 v3, 8, v4
	s_wait_loadcnt 0x0
	v_mul_lo_u16 v2, v2, v5
	s_delay_alu instid0(VALU_DEP_1)
	v_bitop3_b16 v2, v2, v3, 0xff bitop3:0xec
	global_store_b16 v[0:1], v2, off
.LBB14_4:
	s_endpgm
	.section	.rodata,"a",@progbits
	.p2align	6, 0x0
	.amdhsa_kernel _Z17testOperationsGPUI15HIP_vector_typeIcLj3EES0_IcLj1EEEvPT_S4_i
		.amdhsa_group_segment_fixed_size 0
		.amdhsa_private_segment_fixed_size 0
		.amdhsa_kernarg_size 20
		.amdhsa_user_sgpr_count 2
		.amdhsa_user_sgpr_dispatch_ptr 0
		.amdhsa_user_sgpr_queue_ptr 0
		.amdhsa_user_sgpr_kernarg_segment_ptr 1
		.amdhsa_user_sgpr_dispatch_id 0
		.amdhsa_user_sgpr_kernarg_preload_length 0
		.amdhsa_user_sgpr_kernarg_preload_offset 0
		.amdhsa_user_sgpr_private_segment_size 0
		.amdhsa_wavefront_size32 1
		.amdhsa_uses_dynamic_stack 0
		.amdhsa_enable_private_segment 0
		.amdhsa_system_sgpr_workgroup_id_x 1
		.amdhsa_system_sgpr_workgroup_id_y 0
		.amdhsa_system_sgpr_workgroup_id_z 0
		.amdhsa_system_sgpr_workgroup_info 0
		.amdhsa_system_vgpr_workitem_id 0
		.amdhsa_next_free_vgpr 10
		.amdhsa_next_free_sgpr 4
		.amdhsa_named_barrier_count 0
		.amdhsa_reserve_vcc 1
		.amdhsa_float_round_mode_32 0
		.amdhsa_float_round_mode_16_64 0
		.amdhsa_float_denorm_mode_32 3
		.amdhsa_float_denorm_mode_16_64 3
		.amdhsa_fp16_overflow 0
		.amdhsa_memory_ordered 1
		.amdhsa_forward_progress 1
		.amdhsa_inst_pref_size 4
		.amdhsa_round_robin_scheduling 0
		.amdhsa_exception_fp_ieee_invalid_op 0
		.amdhsa_exception_fp_denorm_src 0
		.amdhsa_exception_fp_ieee_div_zero 0
		.amdhsa_exception_fp_ieee_overflow 0
		.amdhsa_exception_fp_ieee_underflow 0
		.amdhsa_exception_fp_ieee_inexact 0
		.amdhsa_exception_int_div_zero 0
	.end_amdhsa_kernel
	.section	.text._Z17testOperationsGPUI15HIP_vector_typeIcLj3EES0_IcLj1EEEvPT_S4_i,"axG",@progbits,_Z17testOperationsGPUI15HIP_vector_typeIcLj3EES0_IcLj1EEEvPT_S4_i,comdat
.Lfunc_end14:
	.size	_Z17testOperationsGPUI15HIP_vector_typeIcLj3EES0_IcLj1EEEvPT_S4_i, .Lfunc_end14-_Z17testOperationsGPUI15HIP_vector_typeIcLj3EES0_IcLj1EEEvPT_S4_i
                                        ; -- End function
	.set _Z17testOperationsGPUI15HIP_vector_typeIcLj3EES0_IcLj1EEEvPT_S4_i.num_vgpr, 10
	.set _Z17testOperationsGPUI15HIP_vector_typeIcLj3EES0_IcLj1EEEvPT_S4_i.num_agpr, 0
	.set _Z17testOperationsGPUI15HIP_vector_typeIcLj3EES0_IcLj1EEEvPT_S4_i.numbered_sgpr, 4
	.set _Z17testOperationsGPUI15HIP_vector_typeIcLj3EES0_IcLj1EEEvPT_S4_i.num_named_barrier, 0
	.set _Z17testOperationsGPUI15HIP_vector_typeIcLj3EES0_IcLj1EEEvPT_S4_i.private_seg_size, 0
	.set _Z17testOperationsGPUI15HIP_vector_typeIcLj3EES0_IcLj1EEEvPT_S4_i.uses_vcc, 1
	.set _Z17testOperationsGPUI15HIP_vector_typeIcLj3EES0_IcLj1EEEvPT_S4_i.uses_flat_scratch, 0
	.set _Z17testOperationsGPUI15HIP_vector_typeIcLj3EES0_IcLj1EEEvPT_S4_i.has_dyn_sized_stack, 0
	.set _Z17testOperationsGPUI15HIP_vector_typeIcLj3EES0_IcLj1EEEvPT_S4_i.has_recursion, 0
	.set _Z17testOperationsGPUI15HIP_vector_typeIcLj3EES0_IcLj1EEEvPT_S4_i.has_indirect_call, 0
	.section	.AMDGPU.csdata,"",@progbits
; Kernel info:
; codeLenInByte = 416
; TotalNumSgprs: 6
; NumVgprs: 10
; ScratchSize: 0
; MemoryBound: 0
; FloatMode: 240
; IeeeMode: 1
; LDSByteSize: 0 bytes/workgroup (compile time only)
; SGPRBlocks: 0
; VGPRBlocks: 0
; NumSGPRsForWavesPerEU: 6
; NumVGPRsForWavesPerEU: 10
; NamedBarCnt: 0
; Occupancy: 16
; WaveLimiterHint : 0
; COMPUTE_PGM_RSRC2:SCRATCH_EN: 0
; COMPUTE_PGM_RSRC2:USER_SGPR: 2
; COMPUTE_PGM_RSRC2:TRAP_HANDLER: 0
; COMPUTE_PGM_RSRC2:TGID_X_EN: 1
; COMPUTE_PGM_RSRC2:TGID_Y_EN: 0
; COMPUTE_PGM_RSRC2:TGID_Z_EN: 0
; COMPUTE_PGM_RSRC2:TIDIG_COMP_CNT: 0
	.section	.text._Z17testOperationsGPUI15HIP_vector_typeIcLj4EES0_IcLj1EEEvPT_S4_i,"axG",@progbits,_Z17testOperationsGPUI15HIP_vector_typeIcLj4EES0_IcLj1EEEvPT_S4_i,comdat
	.protected	_Z17testOperationsGPUI15HIP_vector_typeIcLj4EES0_IcLj1EEEvPT_S4_i ; -- Begin function _Z17testOperationsGPUI15HIP_vector_typeIcLj4EES0_IcLj1EEEvPT_S4_i
	.globl	_Z17testOperationsGPUI15HIP_vector_typeIcLj4EES0_IcLj1EEEvPT_S4_i
	.p2align	8
	.type	_Z17testOperationsGPUI15HIP_vector_typeIcLj4EES0_IcLj1EEEvPT_S4_i,@function
_Z17testOperationsGPUI15HIP_vector_typeIcLj4EES0_IcLj1EEEvPT_S4_i: ; @_Z17testOperationsGPUI15HIP_vector_typeIcLj4EES0_IcLj1EEEvPT_S4_i
; %bb.0:
	s_load_b32 s2, s[0:1], 0x10
	s_wait_kmcnt 0x0
	v_cmp_ge_i32_e32 vcc_lo, s2, v0
	s_and_saveexec_b32 s2, vcc_lo
	s_cbranch_execz .LBB15_4
; %bb.1:
	s_load_b128 s[0:3], s[0:1], 0x0
	v_dual_mov_b32 v7, 0 :: v_dual_lshlrev_b32 v6, 2, v0
	s_wait_kmcnt 0x0
	s_clause 0x1
	global_load_u8 v0, v6, s[2:3]
	global_load_u8 v1, v6, s[0:1]
	v_add_nc_u64_e32 v[2:3], s[2:3], v[6:7]
	s_wait_loadcnt 0x0
	v_add_nc_u16 v0, v0, v1
	s_delay_alu instid0(VALU_DEP_1)
	v_add_nc_u16 v0, v0, 1
	s_clause 0x1
	global_store_b8 v6, v0, s[0:1]
	global_load_u8 v4, v6, s[2:3]
	s_wait_xcnt 0x1
	v_add_nc_u64_e32 v[0:1], s[0:1], v[6:7]
	s_wait_loadcnt 0x0
	v_add_nc_u16 v8, v4, 1
	s_clause 0x2
	global_store_b8 v6, v8, s[0:1] offset:1
	global_load_i8 v5, v6, s[2:3] offset:1
	global_store_b8 v6, v8, s[2:3]
	s_wait_loadcnt 0x0
	global_store_b8 v6, v5, s[0:1]
	s_wait_xcnt 0x0
	s_mov_b32 s0, exec_lo
	v_cmpx_lt_i16_e32 0, v5
	s_cbranch_execz .LBB15_3
; %bb.2:
	global_load_i8 v6, v[2:3], off
	v_bfe_i32 v5, v5, 0, 16
	s_delay_alu instid0(VALU_DEP_1) | instskip(NEXT) | instid1(VALU_DEP_1)
	v_cvt_f32_i32_e32 v7, v5
	v_rcp_iflag_f32_e32 v8, v7
	s_wait_loadcnt 0x0
	v_cvt_f32_i32_e32 v9, v6
	s_delay_alu instid0(TRANS32_DEP_1) | instid1(VALU_DEP_1)
	v_dual_mul_f32 v8, v9, v8 :: v_dual_bitop2_b32 v5, v6, v5 bitop3:0x14
	s_delay_alu instid0(VALU_DEP_1) | instskip(NEXT) | instid1(VALU_DEP_1)
	v_trunc_f32_e32 v6, v8
	v_dual_ashrrev_i32 v5, 30, v5 :: v_dual_fma_f32 v8, -v6, v7, v9
	s_delay_alu instid0(VALU_DEP_1) | instskip(SKIP_1) | instid1(VALU_DEP_3)
	v_or_b32_e32 v5, 1, v5
	v_cvt_i32_f32_e32 v6, v6
	v_cmp_ge_f32_e64 vcc_lo, |v8|, |v7|
	s_delay_alu instid0(VALU_DEP_3) | instskip(NEXT) | instid1(VALU_DEP_1)
	v_cndmask_b32_e32 v5, 0, v5, vcc_lo
	v_add_nc_u32_e32 v5, v6, v5
	global_store_b8 v[2:3], v5, off
	global_load_u8 v5, v[0:1], off
.LBB15_3:
	s_wait_xcnt 0x0
	s_or_b32 exec_lo, exec_lo, s0
	global_load_u8 v6, v[2:3], off offset:2
	v_lshlrev_b16 v4, 8, v4
	s_wait_loadcnt 0x0
	v_mul_lo_u16 v5, v6, v5
	s_delay_alu instid0(VALU_DEP_1)
	v_bitop3_b16 v4, v5, v4, 0xff bitop3:0xec
	global_store_b16 v[0:1], v4, off
	s_clause 0x1
	global_store_b8 v[2:3], v5, off offset:3
	global_load_u8 v4, v[2:3], off offset:1
	global_load_u8 v5, v[0:1], off offset:3
	s_wait_loadcnt 0x0
	s_wait_xcnt 0x1
	v_sub_nc_u16 v2, v5, v4
	global_store_b8 v[0:1], v2, off offset:3
.LBB15_4:
	s_endpgm
	.section	.rodata,"a",@progbits
	.p2align	6, 0x0
	.amdhsa_kernel _Z17testOperationsGPUI15HIP_vector_typeIcLj4EES0_IcLj1EEEvPT_S4_i
		.amdhsa_group_segment_fixed_size 0
		.amdhsa_private_segment_fixed_size 0
		.amdhsa_kernarg_size 20
		.amdhsa_user_sgpr_count 2
		.amdhsa_user_sgpr_dispatch_ptr 0
		.amdhsa_user_sgpr_queue_ptr 0
		.amdhsa_user_sgpr_kernarg_segment_ptr 1
		.amdhsa_user_sgpr_dispatch_id 0
		.amdhsa_user_sgpr_kernarg_preload_length 0
		.amdhsa_user_sgpr_kernarg_preload_offset 0
		.amdhsa_user_sgpr_private_segment_size 0
		.amdhsa_wavefront_size32 1
		.amdhsa_uses_dynamic_stack 0
		.amdhsa_enable_private_segment 0
		.amdhsa_system_sgpr_workgroup_id_x 1
		.amdhsa_system_sgpr_workgroup_id_y 0
		.amdhsa_system_sgpr_workgroup_id_z 0
		.amdhsa_system_sgpr_workgroup_info 0
		.amdhsa_system_vgpr_workitem_id 0
		.amdhsa_next_free_vgpr 10
		.amdhsa_next_free_sgpr 4
		.amdhsa_named_barrier_count 0
		.amdhsa_reserve_vcc 1
		.amdhsa_float_round_mode_32 0
		.amdhsa_float_round_mode_16_64 0
		.amdhsa_float_denorm_mode_32 3
		.amdhsa_float_denorm_mode_16_64 3
		.amdhsa_fp16_overflow 0
		.amdhsa_memory_ordered 1
		.amdhsa_forward_progress 1
		.amdhsa_inst_pref_size 4
		.amdhsa_round_robin_scheduling 0
		.amdhsa_exception_fp_ieee_invalid_op 0
		.amdhsa_exception_fp_denorm_src 0
		.amdhsa_exception_fp_ieee_div_zero 0
		.amdhsa_exception_fp_ieee_overflow 0
		.amdhsa_exception_fp_ieee_underflow 0
		.amdhsa_exception_fp_ieee_inexact 0
		.amdhsa_exception_int_div_zero 0
	.end_amdhsa_kernel
	.section	.text._Z17testOperationsGPUI15HIP_vector_typeIcLj4EES0_IcLj1EEEvPT_S4_i,"axG",@progbits,_Z17testOperationsGPUI15HIP_vector_typeIcLj4EES0_IcLj1EEEvPT_S4_i,comdat
.Lfunc_end15:
	.size	_Z17testOperationsGPUI15HIP_vector_typeIcLj4EES0_IcLj1EEEvPT_S4_i, .Lfunc_end15-_Z17testOperationsGPUI15HIP_vector_typeIcLj4EES0_IcLj1EEEvPT_S4_i
                                        ; -- End function
	.set _Z17testOperationsGPUI15HIP_vector_typeIcLj4EES0_IcLj1EEEvPT_S4_i.num_vgpr, 10
	.set _Z17testOperationsGPUI15HIP_vector_typeIcLj4EES0_IcLj1EEEvPT_S4_i.num_agpr, 0
	.set _Z17testOperationsGPUI15HIP_vector_typeIcLj4EES0_IcLj1EEEvPT_S4_i.numbered_sgpr, 4
	.set _Z17testOperationsGPUI15HIP_vector_typeIcLj4EES0_IcLj1EEEvPT_S4_i.num_named_barrier, 0
	.set _Z17testOperationsGPUI15HIP_vector_typeIcLj4EES0_IcLj1EEEvPT_S4_i.private_seg_size, 0
	.set _Z17testOperationsGPUI15HIP_vector_typeIcLj4EES0_IcLj1EEEvPT_S4_i.uses_vcc, 1
	.set _Z17testOperationsGPUI15HIP_vector_typeIcLj4EES0_IcLj1EEEvPT_S4_i.uses_flat_scratch, 0
	.set _Z17testOperationsGPUI15HIP_vector_typeIcLj4EES0_IcLj1EEEvPT_S4_i.has_dyn_sized_stack, 0
	.set _Z17testOperationsGPUI15HIP_vector_typeIcLj4EES0_IcLj1EEEvPT_S4_i.has_recursion, 0
	.set _Z17testOperationsGPUI15HIP_vector_typeIcLj4EES0_IcLj1EEEvPT_S4_i.has_indirect_call, 0
	.section	.AMDGPU.csdata,"",@progbits
; Kernel info:
; codeLenInByte = 492
; TotalNumSgprs: 6
; NumVgprs: 10
; ScratchSize: 0
; MemoryBound: 0
; FloatMode: 240
; IeeeMode: 1
; LDSByteSize: 0 bytes/workgroup (compile time only)
; SGPRBlocks: 0
; VGPRBlocks: 0
; NumSGPRsForWavesPerEU: 6
; NumVGPRsForWavesPerEU: 10
; NamedBarCnt: 0
; Occupancy: 16
; WaveLimiterHint : 0
; COMPUTE_PGM_RSRC2:SCRATCH_EN: 0
; COMPUTE_PGM_RSRC2:USER_SGPR: 2
; COMPUTE_PGM_RSRC2:TRAP_HANDLER: 0
; COMPUTE_PGM_RSRC2:TGID_X_EN: 1
; COMPUTE_PGM_RSRC2:TGID_Y_EN: 0
; COMPUTE_PGM_RSRC2:TGID_Z_EN: 0
; COMPUTE_PGM_RSRC2:TIDIG_COMP_CNT: 0
	.section	.text._Z17testOperationsGPUI15HIP_vector_typeIlLj1EES1_EvPT_S3_i,"axG",@progbits,_Z17testOperationsGPUI15HIP_vector_typeIlLj1EES1_EvPT_S3_i,comdat
	.protected	_Z17testOperationsGPUI15HIP_vector_typeIlLj1EES1_EvPT_S3_i ; -- Begin function _Z17testOperationsGPUI15HIP_vector_typeIlLj1EES1_EvPT_S3_i
	.globl	_Z17testOperationsGPUI15HIP_vector_typeIlLj1EES1_EvPT_S3_i
	.p2align	8
	.type	_Z17testOperationsGPUI15HIP_vector_typeIlLj1EES1_EvPT_S3_i,@function
_Z17testOperationsGPUI15HIP_vector_typeIlLj1EES1_EvPT_S3_i: ; @_Z17testOperationsGPUI15HIP_vector_typeIlLj1EES1_EvPT_S3_i
; %bb.0:
	s_load_b32 s2, s[0:1], 0x10
	s_wait_kmcnt 0x0
	v_cmp_ge_i32_e32 vcc_lo, s2, v0
	s_and_saveexec_b32 s2, vcc_lo
	s_cbranch_execz .LBB16_2
; %bb.1:
	s_load_b128 s[0:3], s[0:1], 0x0
	s_wait_kmcnt 0x0
	s_clause 0x1
	global_load_b64 v[2:3], v0, s[2:3] scale_offset
	global_load_b64 v[4:5], v0, s[0:1] scale_offset
	s_wait_loadcnt 0x0
	v_add_nc_u64_e32 v[2:3], v[2:3], v[4:5]
	s_delay_alu instid0(VALU_DEP_1)
	v_add_nc_u64_e32 v[2:3], 1, v[2:3]
	s_clause 0x1
	global_store_b64 v0, v[2:3], s[0:1] scale_offset
	global_load_b64 v[2:3], v0, s[2:3] scale_offset
	s_wait_loadcnt 0x0
	v_add_nc_u64_e32 v[2:3], 1, v[2:3]
	global_store_b64 v0, v[2:3], s[2:3] scale_offset
.LBB16_2:
	s_endpgm
	.section	.rodata,"a",@progbits
	.p2align	6, 0x0
	.amdhsa_kernel _Z17testOperationsGPUI15HIP_vector_typeIlLj1EES1_EvPT_S3_i
		.amdhsa_group_segment_fixed_size 0
		.amdhsa_private_segment_fixed_size 0
		.amdhsa_kernarg_size 20
		.amdhsa_user_sgpr_count 2
		.amdhsa_user_sgpr_dispatch_ptr 0
		.amdhsa_user_sgpr_queue_ptr 0
		.amdhsa_user_sgpr_kernarg_segment_ptr 1
		.amdhsa_user_sgpr_dispatch_id 0
		.amdhsa_user_sgpr_kernarg_preload_length 0
		.amdhsa_user_sgpr_kernarg_preload_offset 0
		.amdhsa_user_sgpr_private_segment_size 0
		.amdhsa_wavefront_size32 1
		.amdhsa_uses_dynamic_stack 0
		.amdhsa_enable_private_segment 0
		.amdhsa_system_sgpr_workgroup_id_x 1
		.amdhsa_system_sgpr_workgroup_id_y 0
		.amdhsa_system_sgpr_workgroup_id_z 0
		.amdhsa_system_sgpr_workgroup_info 0
		.amdhsa_system_vgpr_workitem_id 0
		.amdhsa_next_free_vgpr 6
		.amdhsa_next_free_sgpr 4
		.amdhsa_named_barrier_count 0
		.amdhsa_reserve_vcc 1
		.amdhsa_float_round_mode_32 0
		.amdhsa_float_round_mode_16_64 0
		.amdhsa_float_denorm_mode_32 3
		.amdhsa_float_denorm_mode_16_64 3
		.amdhsa_fp16_overflow 0
		.amdhsa_memory_ordered 1
		.amdhsa_forward_progress 1
		.amdhsa_inst_pref_size 2
		.amdhsa_round_robin_scheduling 0
		.amdhsa_exception_fp_ieee_invalid_op 0
		.amdhsa_exception_fp_denorm_src 0
		.amdhsa_exception_fp_ieee_div_zero 0
		.amdhsa_exception_fp_ieee_overflow 0
		.amdhsa_exception_fp_ieee_underflow 0
		.amdhsa_exception_fp_ieee_inexact 0
		.amdhsa_exception_int_div_zero 0
	.end_amdhsa_kernel
	.section	.text._Z17testOperationsGPUI15HIP_vector_typeIlLj1EES1_EvPT_S3_i,"axG",@progbits,_Z17testOperationsGPUI15HIP_vector_typeIlLj1EES1_EvPT_S3_i,comdat
.Lfunc_end16:
	.size	_Z17testOperationsGPUI15HIP_vector_typeIlLj1EES1_EvPT_S3_i, .Lfunc_end16-_Z17testOperationsGPUI15HIP_vector_typeIlLj1EES1_EvPT_S3_i
                                        ; -- End function
	.set _Z17testOperationsGPUI15HIP_vector_typeIlLj1EES1_EvPT_S3_i.num_vgpr, 6
	.set _Z17testOperationsGPUI15HIP_vector_typeIlLj1EES1_EvPT_S3_i.num_agpr, 0
	.set _Z17testOperationsGPUI15HIP_vector_typeIlLj1EES1_EvPT_S3_i.numbered_sgpr, 4
	.set _Z17testOperationsGPUI15HIP_vector_typeIlLj1EES1_EvPT_S3_i.num_named_barrier, 0
	.set _Z17testOperationsGPUI15HIP_vector_typeIlLj1EES1_EvPT_S3_i.private_seg_size, 0
	.set _Z17testOperationsGPUI15HIP_vector_typeIlLj1EES1_EvPT_S3_i.uses_vcc, 1
	.set _Z17testOperationsGPUI15HIP_vector_typeIlLj1EES1_EvPT_S3_i.uses_flat_scratch, 0
	.set _Z17testOperationsGPUI15HIP_vector_typeIlLj1EES1_EvPT_S3_i.has_dyn_sized_stack, 0
	.set _Z17testOperationsGPUI15HIP_vector_typeIlLj1EES1_EvPT_S3_i.has_recursion, 0
	.set _Z17testOperationsGPUI15HIP_vector_typeIlLj1EES1_EvPT_S3_i.has_indirect_call, 0
	.section	.AMDGPU.csdata,"",@progbits
; Kernel info:
; codeLenInByte = 132
; TotalNumSgprs: 6
; NumVgprs: 6
; ScratchSize: 0
; MemoryBound: 0
; FloatMode: 240
; IeeeMode: 1
; LDSByteSize: 0 bytes/workgroup (compile time only)
; SGPRBlocks: 0
; VGPRBlocks: 0
; NumSGPRsForWavesPerEU: 6
; NumVGPRsForWavesPerEU: 6
; NamedBarCnt: 0
; Occupancy: 16
; WaveLimiterHint : 0
; COMPUTE_PGM_RSRC2:SCRATCH_EN: 0
; COMPUTE_PGM_RSRC2:USER_SGPR: 2
; COMPUTE_PGM_RSRC2:TRAP_HANDLER: 0
; COMPUTE_PGM_RSRC2:TGID_X_EN: 1
; COMPUTE_PGM_RSRC2:TGID_Y_EN: 0
; COMPUTE_PGM_RSRC2:TGID_Z_EN: 0
; COMPUTE_PGM_RSRC2:TIDIG_COMP_CNT: 0
	.section	.text._Z17testOperationsGPUI15HIP_vector_typeIlLj2EES0_IlLj1EEEvPT_S4_i,"axG",@progbits,_Z17testOperationsGPUI15HIP_vector_typeIlLj2EES0_IlLj1EEEvPT_S4_i,comdat
	.protected	_Z17testOperationsGPUI15HIP_vector_typeIlLj2EES0_IlLj1EEEvPT_S4_i ; -- Begin function _Z17testOperationsGPUI15HIP_vector_typeIlLj2EES0_IlLj1EEEvPT_S4_i
	.globl	_Z17testOperationsGPUI15HIP_vector_typeIlLj2EES0_IlLj1EEEvPT_S4_i
	.p2align	8
	.type	_Z17testOperationsGPUI15HIP_vector_typeIlLj2EES0_IlLj1EEEvPT_S4_i,@function
_Z17testOperationsGPUI15HIP_vector_typeIlLj2EES0_IlLj1EEEvPT_S4_i: ; @_Z17testOperationsGPUI15HIP_vector_typeIlLj2EES0_IlLj1EEEvPT_S4_i
; %bb.0:
	s_load_b32 s2, s[0:1], 0x10
	s_wait_kmcnt 0x0
	v_cmp_ge_i32_e32 vcc_lo, s2, v0
	s_and_saveexec_b32 s2, vcc_lo
	s_cbranch_execz .LBB17_2
; %bb.1:
	s_load_b128 s[0:3], s[0:1], 0x0
	v_lshlrev_b32_e32 v4, 4, v0
	s_wait_kmcnt 0x0
	s_clause 0x1
	global_load_b64 v[0:1], v4, s[2:3]
	global_load_b64 v[2:3], v4, s[0:1]
	s_wait_loadcnt 0x0
	v_add_nc_u64_e32 v[0:1], v[0:1], v[2:3]
	s_delay_alu instid0(VALU_DEP_1)
	v_add_nc_u64_e32 v[0:1], 1, v[0:1]
	s_clause 0x1
	global_store_b64 v4, v[0:1], s[0:1]
	global_load_b64 v[0:1], v4, s[2:3]
	s_wait_loadcnt 0x0
	v_add_nc_u64_e32 v[0:1], 1, v[0:1]
	s_clause 0x2
	global_store_b64 v4, v[0:1], s[0:1] offset:8
	global_load_b64 v[2:3], v4, s[2:3] offset:8
	global_store_b64 v4, v[0:1], s[2:3]
	s_wait_loadcnt 0x0
	global_store_b64 v4, v[2:3], s[0:1]
.LBB17_2:
	s_endpgm
	.section	.rodata,"a",@progbits
	.p2align	6, 0x0
	.amdhsa_kernel _Z17testOperationsGPUI15HIP_vector_typeIlLj2EES0_IlLj1EEEvPT_S4_i
		.amdhsa_group_segment_fixed_size 0
		.amdhsa_private_segment_fixed_size 0
		.amdhsa_kernarg_size 20
		.amdhsa_user_sgpr_count 2
		.amdhsa_user_sgpr_dispatch_ptr 0
		.amdhsa_user_sgpr_queue_ptr 0
		.amdhsa_user_sgpr_kernarg_segment_ptr 1
		.amdhsa_user_sgpr_dispatch_id 0
		.amdhsa_user_sgpr_kernarg_preload_length 0
		.amdhsa_user_sgpr_kernarg_preload_offset 0
		.amdhsa_user_sgpr_private_segment_size 0
		.amdhsa_wavefront_size32 1
		.amdhsa_uses_dynamic_stack 0
		.amdhsa_enable_private_segment 0
		.amdhsa_system_sgpr_workgroup_id_x 1
		.amdhsa_system_sgpr_workgroup_id_y 0
		.amdhsa_system_sgpr_workgroup_id_z 0
		.amdhsa_system_sgpr_workgroup_info 0
		.amdhsa_system_vgpr_workitem_id 0
		.amdhsa_next_free_vgpr 5
		.amdhsa_next_free_sgpr 4
		.amdhsa_named_barrier_count 0
		.amdhsa_reserve_vcc 1
		.amdhsa_float_round_mode_32 0
		.amdhsa_float_round_mode_16_64 0
		.amdhsa_float_denorm_mode_32 3
		.amdhsa_float_denorm_mode_16_64 3
		.amdhsa_fp16_overflow 0
		.amdhsa_memory_ordered 1
		.amdhsa_forward_progress 1
		.amdhsa_inst_pref_size 2
		.amdhsa_round_robin_scheduling 0
		.amdhsa_exception_fp_ieee_invalid_op 0
		.amdhsa_exception_fp_denorm_src 0
		.amdhsa_exception_fp_ieee_div_zero 0
		.amdhsa_exception_fp_ieee_overflow 0
		.amdhsa_exception_fp_ieee_underflow 0
		.amdhsa_exception_fp_ieee_inexact 0
		.amdhsa_exception_int_div_zero 0
	.end_amdhsa_kernel
	.section	.text._Z17testOperationsGPUI15HIP_vector_typeIlLj2EES0_IlLj1EEEvPT_S4_i,"axG",@progbits,_Z17testOperationsGPUI15HIP_vector_typeIlLj2EES0_IlLj1EEEvPT_S4_i,comdat
.Lfunc_end17:
	.size	_Z17testOperationsGPUI15HIP_vector_typeIlLj2EES0_IlLj1EEEvPT_S4_i, .Lfunc_end17-_Z17testOperationsGPUI15HIP_vector_typeIlLj2EES0_IlLj1EEEvPT_S4_i
                                        ; -- End function
	.set _Z17testOperationsGPUI15HIP_vector_typeIlLj2EES0_IlLj1EEEvPT_S4_i.num_vgpr, 5
	.set _Z17testOperationsGPUI15HIP_vector_typeIlLj2EES0_IlLj1EEEvPT_S4_i.num_agpr, 0
	.set _Z17testOperationsGPUI15HIP_vector_typeIlLj2EES0_IlLj1EEEvPT_S4_i.numbered_sgpr, 4
	.set _Z17testOperationsGPUI15HIP_vector_typeIlLj2EES0_IlLj1EEEvPT_S4_i.num_named_barrier, 0
	.set _Z17testOperationsGPUI15HIP_vector_typeIlLj2EES0_IlLj1EEEvPT_S4_i.private_seg_size, 0
	.set _Z17testOperationsGPUI15HIP_vector_typeIlLj2EES0_IlLj1EEEvPT_S4_i.uses_vcc, 1
	.set _Z17testOperationsGPUI15HIP_vector_typeIlLj2EES0_IlLj1EEEvPT_S4_i.uses_flat_scratch, 0
	.set _Z17testOperationsGPUI15HIP_vector_typeIlLj2EES0_IlLj1EEEvPT_S4_i.has_dyn_sized_stack, 0
	.set _Z17testOperationsGPUI15HIP_vector_typeIlLj2EES0_IlLj1EEEvPT_S4_i.has_recursion, 0
	.set _Z17testOperationsGPUI15HIP_vector_typeIlLj2EES0_IlLj1EEEvPT_S4_i.has_indirect_call, 0
	.section	.AMDGPU.csdata,"",@progbits
; Kernel info:
; codeLenInByte = 180
; TotalNumSgprs: 6
; NumVgprs: 5
; ScratchSize: 0
; MemoryBound: 1
; FloatMode: 240
; IeeeMode: 1
; LDSByteSize: 0 bytes/workgroup (compile time only)
; SGPRBlocks: 0
; VGPRBlocks: 0
; NumSGPRsForWavesPerEU: 6
; NumVGPRsForWavesPerEU: 5
; NamedBarCnt: 0
; Occupancy: 16
; WaveLimiterHint : 1
; COMPUTE_PGM_RSRC2:SCRATCH_EN: 0
; COMPUTE_PGM_RSRC2:USER_SGPR: 2
; COMPUTE_PGM_RSRC2:TRAP_HANDLER: 0
; COMPUTE_PGM_RSRC2:TGID_X_EN: 1
; COMPUTE_PGM_RSRC2:TGID_Y_EN: 0
; COMPUTE_PGM_RSRC2:TGID_Z_EN: 0
; COMPUTE_PGM_RSRC2:TIDIG_COMP_CNT: 0
	.section	.text._Z17testOperationsGPUI15HIP_vector_typeIlLj3EES0_IlLj1EEEvPT_S4_i,"axG",@progbits,_Z17testOperationsGPUI15HIP_vector_typeIlLj3EES0_IlLj1EEEvPT_S4_i,comdat
	.protected	_Z17testOperationsGPUI15HIP_vector_typeIlLj3EES0_IlLj1EEEvPT_S4_i ; -- Begin function _Z17testOperationsGPUI15HIP_vector_typeIlLj3EES0_IlLj1EEEvPT_S4_i
	.globl	_Z17testOperationsGPUI15HIP_vector_typeIlLj3EES0_IlLj1EEEvPT_S4_i
	.p2align	8
	.type	_Z17testOperationsGPUI15HIP_vector_typeIlLj3EES0_IlLj1EEEvPT_S4_i,@function
_Z17testOperationsGPUI15HIP_vector_typeIlLj3EES0_IlLj1EEEvPT_S4_i: ; @_Z17testOperationsGPUI15HIP_vector_typeIlLj3EES0_IlLj1EEEvPT_S4_i
; %bb.0:
	s_load_b32 s2, s[0:1], 0x10
	s_wait_kmcnt 0x0
	v_cmp_ge_i32_e32 vcc_lo, s2, v0
	s_and_saveexec_b32 s2, vcc_lo
	s_cbranch_execz .LBB18_8
; %bb.1:
	s_load_b128 s[0:3], s[0:1], 0x0
	s_wait_kmcnt 0x0
	v_mad_nc_u64_u32 v[6:7], v0, 24, s[2:3]
	v_mad_nc_u64_u32 v[4:5], v0, 24, s[0:1]
	s_mov_b32 s1, exec_lo
	global_load_b64 v[0:1], v[6:7], off
	global_load_b64 v[2:3], v[4:5], off
	s_wait_loadcnt 0x0
	v_add_nc_u64_e32 v[0:1], v[0:1], v[2:3]
	s_delay_alu instid0(VALU_DEP_1)
	v_add_nc_u64_e32 v[0:1], 1, v[0:1]
	global_store_b64 v[4:5], v[0:1], off
	global_load_b64 v[2:3], v[6:7], off
	s_wait_loadcnt 0x0
	s_wait_xcnt 0x1
	v_add_nc_u64_e32 v[0:1], 1, v[2:3]
	global_store_b64 v[4:5], v[0:1], off offset:8
	s_clause 0x1
	global_load_b64 v[8:9], v[6:7], off offset:8
	global_store_b64 v[6:7], v[0:1], off
	s_wait_loadcnt 0x0
	global_store_b64 v[4:5], v[8:9], off
	s_wait_xcnt 0x0
	v_cmpx_lt_i64_e32 0, v[8:9]
	s_cbranch_execz .LBB18_7
; %bb.2:
	global_load_b64 v[12:13], v[6:7], off
                                        ; implicit-def: $vgpr0_vgpr1
	s_mov_b32 s0, exec_lo
	s_wait_loadcnt 0x0
	v_dual_mov_b32 v10, 0 :: v_dual_bitop2_b32 v11, v13, v9 bitop3:0x54
	s_wait_xcnt 0x0
	s_delay_alu instid0(VALU_DEP_1)
	v_cmpx_ne_u64_e32 0, v[10:11]
	s_xor_b32 s2, exec_lo, s0
	s_cbranch_execz .LBB18_4
; %bb.3:
	v_dual_mov_b32 v15, v10 :: v_dual_ashrrev_i32 v0, 31, v9
	v_dual_mov_b32 v23, v10 :: v_dual_mov_b32 v25, v10
	s_delay_alu instid0(VALU_DEP_2) | instskip(NEXT) | instid1(VALU_DEP_1)
	v_mov_b32_e32 v1, v0
	v_add_nc_u64_e32 v[8:9], v[8:9], v[0:1]
	s_delay_alu instid0(VALU_DEP_1) | instskip(NEXT) | instid1(VALU_DEP_2)
	v_xor_b32_e32 v8, v8, v0
	v_xor_b32_e32 v9, v9, v0
	s_delay_alu instid0(VALU_DEP_2) | instskip(NEXT) | instid1(VALU_DEP_2)
	v_cvt_f32_u32_e32 v1, v8
	v_cvt_f32_u32_e32 v11, v9
	s_delay_alu instid0(VALU_DEP_1) | instskip(NEXT) | instid1(VALU_DEP_1)
	v_fmamk_f32 v1, v11, 0x4f800000, v1
	v_rcp_f32_e32 v1, v1
	v_nop
	s_delay_alu instid0(TRANS32_DEP_1) | instskip(NEXT) | instid1(VALU_DEP_1)
	v_mul_f32_e32 v1, 0x5f7ffffc, v1
	v_mul_f32_e32 v11, 0x2f800000, v1
	s_delay_alu instid0(VALU_DEP_1) | instskip(NEXT) | instid1(VALU_DEP_1)
	v_trunc_f32_e32 v11, v11
	v_fmamk_f32 v1, v11, 0xcf800000, v1
	v_cvt_u32_f32_e32 v19, v11
	v_mov_b32_e32 v11, v10
	s_delay_alu instid0(VALU_DEP_3) | instskip(NEXT) | instid1(VALU_DEP_1)
	v_cvt_u32_f32_e32 v14, v1
	v_dual_mov_b32 v24, v19 :: v_dual_mov_b32 v18, v14
	v_sub_nc_u64_e32 v[16:17], 0, v[8:9]
	s_delay_alu instid0(VALU_DEP_1) | instskip(NEXT) | instid1(VALU_DEP_1)
	v_mul_u64_e32 v[20:21], v[16:17], v[18:19]
	v_dual_mov_b32 v22, v21 :: v_dual_mov_b32 v21, v10
	s_delay_alu instid0(VALU_DEP_1) | instskip(NEXT) | instid1(VALU_DEP_2)
	v_mul_u64_e32 v[26:27], v[14:15], v[22:23]
	v_mul_u64_e32 v[28:29], v[24:25], v[20:21]
	;; [unrolled: 1-line block ×3, first 2 shown]
	v_mul_hi_u32 v20, v14, v20
	s_delay_alu instid0(VALU_DEP_1) | instskip(SKIP_1) | instid1(VALU_DEP_2)
	v_add_nc_u64_e32 v[20:21], v[20:21], v[26:27]
	v_ashrrev_i32_e32 v26, 31, v13
	v_add_co_u32 v1, vcc_lo, v20, v28
	s_delay_alu instid0(VALU_DEP_3) | instskip(SKIP_1) | instid1(VALU_DEP_1)
	v_add_co_ci_u32_e32 v24, vcc_lo, v21, v29, vcc_lo
	v_add_co_ci_u32_e32 v23, vcc_lo, 0, v23, vcc_lo
	v_add_nc_u64_e32 v[20:21], v[24:25], v[22:23]
	s_delay_alu instid0(VALU_DEP_1) | instskip(NEXT) | instid1(VALU_DEP_1)
	v_add_co_u32 v14, vcc_lo, v14, v20
	v_add_co_ci_u32_e64 v18, null, v19, v21, vcc_lo
	v_dual_mov_b32 v21, v10 :: v_dual_mov_b32 v19, v10
	s_delay_alu instid0(VALU_DEP_2) | instskip(NEXT) | instid1(VALU_DEP_1)
	v_mov_b32_e32 v15, v18
	v_mul_u64_e32 v[16:17], v[16:17], v[14:15]
	s_delay_alu instid0(VALU_DEP_1) | instskip(NEXT) | instid1(VALU_DEP_2)
	v_dual_mov_b32 v15, v10 :: v_dual_mov_b32 v20, v17
	v_dual_mov_b32 v24, v16 :: v_dual_mov_b32 v17, v10
	v_mul_hi_u32 v16, v14, v16
	s_delay_alu instid0(VALU_DEP_3) | instskip(NEXT) | instid1(VALU_DEP_3)
	v_mul_u64_e32 v[22:23], v[14:15], v[20:21]
	v_mul_u64_e32 v[24:25], v[18:19], v[24:25]
	;; [unrolled: 1-line block ×3, first 2 shown]
	s_delay_alu instid0(VALU_DEP_3) | instskip(SKIP_2) | instid1(VALU_DEP_3)
	v_add_nc_u64_e32 v[16:17], v[16:17], v[22:23]
	v_dual_mov_b32 v23, v10 :: v_dual_mov_b32 v27, v26
	v_xor_b32_e32 v0, v26, v0
	v_add_co_u32 v1, vcc_lo, v16, v24
	s_delay_alu instid0(VALU_DEP_4) | instskip(SKIP_1) | instid1(VALU_DEP_1)
	v_add_co_ci_u32_e32 v22, vcc_lo, v17, v25, vcc_lo
	v_add_co_ci_u32_e32 v21, vcc_lo, 0, v21, vcc_lo
	v_add_nc_u64_e32 v[16:17], v[22:23], v[20:21]
	v_mov_b32_e32 v21, v10
	v_add_nc_u64_e32 v[12:13], v[12:13], v[26:27]
	s_delay_alu instid0(VALU_DEP_3) | instskip(NEXT) | instid1(VALU_DEP_2)
	v_add_co_u32 v16, vcc_lo, v14, v16
	v_xor_b32_e32 v20, v12, v26
	v_add_co_ci_u32_e64 v14, null, v18, v17, vcc_lo
	s_delay_alu instid0(VALU_DEP_4) | instskip(NEXT) | instid1(VALU_DEP_2)
	v_dual_mov_b32 v17, v10 :: v_dual_bitop2_b32 v18, v13, v26 bitop3:0x14
	v_mul_u64_e32 v[22:23], v[20:21], v[14:15]
	s_delay_alu instid0(VALU_DEP_2) | instskip(SKIP_2) | instid1(VALU_DEP_1)
	v_mul_u64_e32 v[12:13], v[18:19], v[16:17]
	v_mul_u64_e32 v[14:15], v[18:19], v[14:15]
	v_mul_hi_u32 v16, v20, v16
	v_add_nc_u64_e32 v[16:17], v[16:17], v[22:23]
	s_delay_alu instid0(VALU_DEP_1) | instskip(NEXT) | instid1(VALU_DEP_2)
	v_add_co_u32 v1, vcc_lo, v16, v12
	v_add_co_ci_u32_e32 v10, vcc_lo, v17, v13, vcc_lo
	v_add_co_ci_u32_e32 v15, vcc_lo, 0, v15, vcc_lo
	s_delay_alu instid0(VALU_DEP_1) | instskip(NEXT) | instid1(VALU_DEP_1)
	v_add_nc_u64_e32 v[10:11], v[10:11], v[14:15]
	v_mul_u64_e32 v[12:13], v[8:9], v[10:11]
	s_delay_alu instid0(VALU_DEP_1) | instskip(NEXT) | instid1(VALU_DEP_2)
	v_sub_nc_u32_e32 v1, v18, v13
	v_sub_co_u32 v12, vcc_lo, v20, v12
	s_delay_alu instid0(VALU_DEP_1) | instskip(NEXT) | instid1(VALU_DEP_3)
	v_sub_co_ci_u32_e64 v16, null, v18, v13, vcc_lo
	v_sub_co_ci_u32_e64 v1, null, v1, v9, vcc_lo
	s_delay_alu instid0(VALU_DEP_3) | instskip(NEXT) | instid1(VALU_DEP_1)
	v_sub_co_u32 v14, s0, v12, v8
	v_subrev_co_ci_u32_e64 v1, null, 0, v1, s0
	s_delay_alu instid0(VALU_DEP_2) | instskip(SKIP_1) | instid1(VALU_DEP_3)
	v_cmp_ge_u32_e32 vcc_lo, v14, v8
	v_cndmask_b32_e64 v13, 0, -1, vcc_lo
	v_cmp_ge_u32_e32 vcc_lo, v1, v9
	v_cndmask_b32_e64 v14, 0, -1, vcc_lo
	;; [unrolled: 2-line block ×4, first 2 shown]
	v_cmp_eq_u32_e32 vcc_lo, v1, v9
	v_cndmask_b32_e32 v1, v14, v13, vcc_lo
	v_cmp_eq_u32_e32 vcc_lo, v16, v9
	v_add_nc_u64_e32 v[12:13], 2, v[10:11]
	v_add_nc_u64_e32 v[14:15], 1, v[10:11]
	v_cndmask_b32_e32 v8, v17, v8, vcc_lo
	v_cmp_ne_u32_e32 vcc_lo, 0, v1
	s_delay_alu instid0(VALU_DEP_2) | instskip(NEXT) | instid1(VALU_DEP_4)
	v_cmp_ne_u32_e64 s0, 0, v8
	v_dual_cndmask_b32 v1, v15, v13 :: v_dual_cndmask_b32 v8, v14, v12
                                        ; implicit-def: $vgpr12_vgpr13
	s_delay_alu instid0(VALU_DEP_1) | instskip(NEXT) | instid1(VALU_DEP_1)
	v_dual_cndmask_b32 v9, v11, v1, s0 :: v_dual_cndmask_b32 v8, v10, v8, s0
	v_dual_mov_b32 v1, v0 :: v_dual_bitop2_b32 v9, v9, v0 bitop3:0x14
	s_delay_alu instid0(VALU_DEP_2) | instskip(NEXT) | instid1(VALU_DEP_1)
	v_xor_b32_e32 v8, v8, v0
	v_sub_nc_u64_e32 v[0:1], v[8:9], v[0:1]
                                        ; implicit-def: $vgpr8_vgpr9
.LBB18_4:
	s_and_not1_saveexec_b32 s0, s2
	s_cbranch_execz .LBB18_6
; %bb.5:
	v_cvt_f32_u32_e32 v0, v8
	v_sub_nc_u32_e32 v1, 0, v8
	s_delay_alu instid0(VALU_DEP_2) | instskip(SKIP_1) | instid1(TRANS32_DEP_1)
	v_rcp_iflag_f32_e32 v0, v0
	v_nop
	v_mul_f32_e32 v0, 0x4f7ffffe, v0
	s_delay_alu instid0(VALU_DEP_1) | instskip(NEXT) | instid1(VALU_DEP_1)
	v_cvt_u32_f32_e32 v0, v0
	v_mul_lo_u32 v1, v1, v0
	s_delay_alu instid0(VALU_DEP_1) | instskip(NEXT) | instid1(VALU_DEP_1)
	v_mul_hi_u32 v1, v0, v1
	v_add_nc_u32_e32 v0, v0, v1
	s_delay_alu instid0(VALU_DEP_1) | instskip(NEXT) | instid1(VALU_DEP_1)
	v_mul_hi_u32 v0, v12, v0
	v_mul_lo_u32 v1, v0, v8
	s_delay_alu instid0(VALU_DEP_1) | instskip(NEXT) | instid1(VALU_DEP_1)
	v_sub_nc_u32_e32 v1, v12, v1
	v_sub_nc_u32_e32 v10, v1, v8
	v_cmp_ge_u32_e32 vcc_lo, v1, v8
	s_delay_alu instid0(VALU_DEP_2) | instskip(NEXT) | instid1(VALU_DEP_1)
	v_dual_add_nc_u32 v9, 1, v0 :: v_dual_cndmask_b32 v1, v1, v10, vcc_lo
	v_cndmask_b32_e32 v0, v0, v9, vcc_lo
	s_delay_alu instid0(VALU_DEP_2) | instskip(NEXT) | instid1(VALU_DEP_2)
	v_cmp_ge_u32_e32 vcc_lo, v1, v8
	v_dual_add_nc_u32 v9, 1, v0 :: v_dual_mov_b32 v1, 0
	s_delay_alu instid0(VALU_DEP_1)
	v_cndmask_b32_e32 v0, v0, v9, vcc_lo
.LBB18_6:
	s_or_b32 exec_lo, exec_lo, s0
	global_store_b64 v[6:7], v[0:1], off
	global_load_b64 v[8:9], v[4:5], off
.LBB18_7:
	s_wait_xcnt 0x0
	s_or_b32 exec_lo, exec_lo, s1
	global_load_b64 v[0:1], v[6:7], off offset:16
	s_wait_loadcnt 0x0
	v_mul_u64_e32 v[0:1], v[0:1], v[8:9]
	global_store_b128 v[4:5], v[0:3], off
.LBB18_8:
	s_endpgm
	.section	.rodata,"a",@progbits
	.p2align	6, 0x0
	.amdhsa_kernel _Z17testOperationsGPUI15HIP_vector_typeIlLj3EES0_IlLj1EEEvPT_S4_i
		.amdhsa_group_segment_fixed_size 0
		.amdhsa_private_segment_fixed_size 0
		.amdhsa_kernarg_size 20
		.amdhsa_user_sgpr_count 2
		.amdhsa_user_sgpr_dispatch_ptr 0
		.amdhsa_user_sgpr_queue_ptr 0
		.amdhsa_user_sgpr_kernarg_segment_ptr 1
		.amdhsa_user_sgpr_dispatch_id 0
		.amdhsa_user_sgpr_kernarg_preload_length 0
		.amdhsa_user_sgpr_kernarg_preload_offset 0
		.amdhsa_user_sgpr_private_segment_size 0
		.amdhsa_wavefront_size32 1
		.amdhsa_uses_dynamic_stack 0
		.amdhsa_enable_private_segment 0
		.amdhsa_system_sgpr_workgroup_id_x 1
		.amdhsa_system_sgpr_workgroup_id_y 0
		.amdhsa_system_sgpr_workgroup_id_z 0
		.amdhsa_system_sgpr_workgroup_info 0
		.amdhsa_system_vgpr_workitem_id 0
		.amdhsa_next_free_vgpr 30
		.amdhsa_next_free_sgpr 4
		.amdhsa_named_barrier_count 0
		.amdhsa_reserve_vcc 1
		.amdhsa_float_round_mode_32 0
		.amdhsa_float_round_mode_16_64 0
		.amdhsa_float_denorm_mode_32 3
		.amdhsa_float_denorm_mode_16_64 3
		.amdhsa_fp16_overflow 0
		.amdhsa_memory_ordered 1
		.amdhsa_forward_progress 1
		.amdhsa_inst_pref_size 9
		.amdhsa_round_robin_scheduling 0
		.amdhsa_exception_fp_ieee_invalid_op 0
		.amdhsa_exception_fp_denorm_src 0
		.amdhsa_exception_fp_ieee_div_zero 0
		.amdhsa_exception_fp_ieee_overflow 0
		.amdhsa_exception_fp_ieee_underflow 0
		.amdhsa_exception_fp_ieee_inexact 0
		.amdhsa_exception_int_div_zero 0
	.end_amdhsa_kernel
	.section	.text._Z17testOperationsGPUI15HIP_vector_typeIlLj3EES0_IlLj1EEEvPT_S4_i,"axG",@progbits,_Z17testOperationsGPUI15HIP_vector_typeIlLj3EES0_IlLj1EEEvPT_S4_i,comdat
.Lfunc_end18:
	.size	_Z17testOperationsGPUI15HIP_vector_typeIlLj3EES0_IlLj1EEEvPT_S4_i, .Lfunc_end18-_Z17testOperationsGPUI15HIP_vector_typeIlLj3EES0_IlLj1EEEvPT_S4_i
                                        ; -- End function
	.set _Z17testOperationsGPUI15HIP_vector_typeIlLj3EES0_IlLj1EEEvPT_S4_i.num_vgpr, 30
	.set _Z17testOperationsGPUI15HIP_vector_typeIlLj3EES0_IlLj1EEEvPT_S4_i.num_agpr, 0
	.set _Z17testOperationsGPUI15HIP_vector_typeIlLj3EES0_IlLj1EEEvPT_S4_i.numbered_sgpr, 4
	.set _Z17testOperationsGPUI15HIP_vector_typeIlLj3EES0_IlLj1EEEvPT_S4_i.num_named_barrier, 0
	.set _Z17testOperationsGPUI15HIP_vector_typeIlLj3EES0_IlLj1EEEvPT_S4_i.private_seg_size, 0
	.set _Z17testOperationsGPUI15HIP_vector_typeIlLj3EES0_IlLj1EEEvPT_S4_i.uses_vcc, 1
	.set _Z17testOperationsGPUI15HIP_vector_typeIlLj3EES0_IlLj1EEEvPT_S4_i.uses_flat_scratch, 0
	.set _Z17testOperationsGPUI15HIP_vector_typeIlLj3EES0_IlLj1EEEvPT_S4_i.has_dyn_sized_stack, 0
	.set _Z17testOperationsGPUI15HIP_vector_typeIlLj3EES0_IlLj1EEEvPT_S4_i.has_recursion, 0
	.set _Z17testOperationsGPUI15HIP_vector_typeIlLj3EES0_IlLj1EEEvPT_S4_i.has_indirect_call, 0
	.section	.AMDGPU.csdata,"",@progbits
; Kernel info:
; codeLenInByte = 1136
; TotalNumSgprs: 6
; NumVgprs: 30
; ScratchSize: 0
; MemoryBound: 0
; FloatMode: 240
; IeeeMode: 1
; LDSByteSize: 0 bytes/workgroup (compile time only)
; SGPRBlocks: 0
; VGPRBlocks: 1
; NumSGPRsForWavesPerEU: 6
; NumVGPRsForWavesPerEU: 30
; NamedBarCnt: 0
; Occupancy: 16
; WaveLimiterHint : 0
; COMPUTE_PGM_RSRC2:SCRATCH_EN: 0
; COMPUTE_PGM_RSRC2:USER_SGPR: 2
; COMPUTE_PGM_RSRC2:TRAP_HANDLER: 0
; COMPUTE_PGM_RSRC2:TGID_X_EN: 1
; COMPUTE_PGM_RSRC2:TGID_Y_EN: 0
; COMPUTE_PGM_RSRC2:TGID_Z_EN: 0
; COMPUTE_PGM_RSRC2:TIDIG_COMP_CNT: 0
	.section	.text._Z17testOperationsGPUI15HIP_vector_typeIlLj4EES0_IlLj1EEEvPT_S4_i,"axG",@progbits,_Z17testOperationsGPUI15HIP_vector_typeIlLj4EES0_IlLj1EEEvPT_S4_i,comdat
	.protected	_Z17testOperationsGPUI15HIP_vector_typeIlLj4EES0_IlLj1EEEvPT_S4_i ; -- Begin function _Z17testOperationsGPUI15HIP_vector_typeIlLj4EES0_IlLj1EEEvPT_S4_i
	.globl	_Z17testOperationsGPUI15HIP_vector_typeIlLj4EES0_IlLj1EEEvPT_S4_i
	.p2align	8
	.type	_Z17testOperationsGPUI15HIP_vector_typeIlLj4EES0_IlLj1EEEvPT_S4_i,@function
_Z17testOperationsGPUI15HIP_vector_typeIlLj4EES0_IlLj1EEEvPT_S4_i: ; @_Z17testOperationsGPUI15HIP_vector_typeIlLj4EES0_IlLj1EEEvPT_S4_i
; %bb.0:
	s_load_b32 s2, s[0:1], 0x10
	s_wait_kmcnt 0x0
	v_cmp_ge_i32_e32 vcc_lo, s2, v0
	s_and_saveexec_b32 s2, vcc_lo
	s_cbranch_execz .LBB19_8
; %bb.1:
	s_load_b128 s[0:3], s[0:1], 0x0
	v_dual_mov_b32 v1, 0 :: v_dual_lshlrev_b32 v0, 5, v0
	s_wait_kmcnt 0x0
	s_clause 0x1
	global_load_b64 v[2:3], v0, s[2:3]
	global_load_b64 v[4:5], v0, s[0:1]
	v_add_nc_u64_e32 v[6:7], s[2:3], v[0:1]
	s_wait_loadcnt 0x0
	v_add_nc_u64_e32 v[2:3], v[2:3], v[4:5]
	v_add_nc_u64_e32 v[4:5], s[0:1], v[0:1]
	s_delay_alu instid0(VALU_DEP_2)
	v_add_nc_u64_e32 v[2:3], 1, v[2:3]
	s_clause 0x1
	global_store_b64 v0, v[2:3], s[0:1]
	global_load_b64 v[2:3], v0, s[2:3]
	s_wait_loadcnt 0x0
	v_add_nc_u64_e32 v[10:11], 1, v[2:3]
	s_clause 0x2
	global_store_b64 v0, v[10:11], s[0:1] offset:8
	global_load_b64 v[8:9], v0, s[2:3] offset:8
	global_store_b64 v0, v[10:11], s[2:3]
	s_wait_loadcnt 0x0
	global_store_b64 v0, v[8:9], s[0:1]
	s_wait_xcnt 0x0
	s_mov_b32 s1, exec_lo
	v_cmpx_lt_i64_e32 0, v[8:9]
	s_cbranch_execz .LBB19_7
; %bb.2:
	global_load_b64 v[10:11], v[6:7], off
	s_mov_b32 s0, exec_lo
	v_mov_b32_e32 v12, v1
                                        ; implicit-def: $vgpr0_vgpr1
	s_wait_loadcnt 0x0
	v_or_b32_e32 v13, v11, v9
	s_wait_xcnt 0x0
	s_delay_alu instid0(VALU_DEP_1)
	v_cmpx_ne_u64_e32 0, v[12:13]
	s_xor_b32 s2, exec_lo, s0
	s_cbranch_execz .LBB19_4
; %bb.3:
	v_ashrrev_i32_e32 v0, 31, v9
	s_delay_alu instid0(VALU_DEP_1) | instskip(NEXT) | instid1(VALU_DEP_1)
	v_mov_b32_e32 v1, v0
	v_add_nc_u64_e32 v[8:9], v[8:9], v[0:1]
	s_delay_alu instid0(VALU_DEP_1) | instskip(NEXT) | instid1(VALU_DEP_2)
	v_xor_b32_e32 v8, v8, v0
	v_xor_b32_e32 v9, v9, v0
	s_delay_alu instid0(VALU_DEP_2) | instskip(NEXT) | instid1(VALU_DEP_2)
	v_cvt_f32_u32_e32 v1, v8
	v_cvt_f32_u32_e32 v12, v9
	s_delay_alu instid0(VALU_DEP_1) | instskip(NEXT) | instid1(VALU_DEP_1)
	v_fmamk_f32 v1, v12, 0x4f800000, v1
	v_rcp_f32_e32 v1, v1
	v_nop
	s_delay_alu instid0(TRANS32_DEP_1) | instskip(NEXT) | instid1(VALU_DEP_1)
	v_mul_f32_e32 v1, 0x5f7ffffc, v1
	v_mul_f32_e32 v12, 0x2f800000, v1
	s_delay_alu instid0(VALU_DEP_1) | instskip(NEXT) | instid1(VALU_DEP_1)
	v_trunc_f32_e32 v13, v12
	v_fmamk_f32 v1, v13, 0xcf800000, v1
	v_cvt_u32_f32_e32 v17, v13
	v_mov_b32_e32 v13, 0
	v_sub_nc_u64_e32 v[14:15], 0, v[8:9]
	s_delay_alu instid0(VALU_DEP_4) | instskip(NEXT) | instid1(VALU_DEP_3)
	v_cvt_u32_f32_e32 v12, v1
	v_dual_mov_b32 v22, v17 :: v_dual_mov_b32 v23, v13
	s_delay_alu instid0(VALU_DEP_2) | instskip(NEXT) | instid1(VALU_DEP_1)
	v_dual_mov_b32 v21, v13 :: v_dual_mov_b32 v16, v12
	v_mul_u64_e32 v[18:19], v[14:15], v[16:17]
	s_delay_alu instid0(VALU_DEP_1) | instskip(NEXT) | instid1(VALU_DEP_1)
	v_dual_mov_b32 v20, v19 :: v_dual_mov_b32 v19, v13
	v_mul_u64_e32 v[24:25], v[12:13], v[20:21]
	s_delay_alu instid0(VALU_DEP_2) | instskip(SKIP_2) | instid1(VALU_DEP_1)
	v_mul_u64_e32 v[26:27], v[22:23], v[18:19]
	v_mul_u64_e32 v[20:21], v[22:23], v[20:21]
	v_mul_hi_u32 v18, v12, v18
	v_add_nc_u64_e32 v[18:19], v[18:19], v[24:25]
	v_ashrrev_i32_e32 v24, 31, v11
	s_delay_alu instid0(VALU_DEP_1) | instskip(NEXT) | instid1(VALU_DEP_3)
	v_mov_b32_e32 v25, v24
	v_add_co_u32 v1, vcc_lo, v18, v26
	s_delay_alu instid0(VALU_DEP_4) | instskip(SKIP_1) | instid1(VALU_DEP_4)
	v_add_co_ci_u32_e32 v22, vcc_lo, v19, v27, vcc_lo
	v_add_co_ci_u32_e32 v21, vcc_lo, 0, v21, vcc_lo
	v_add_nc_u64_e32 v[10:11], v[10:11], v[24:25]
	v_xor_b32_e32 v0, v24, v0
	s_delay_alu instid0(VALU_DEP_3) | instskip(NEXT) | instid1(VALU_DEP_1)
	v_add_nc_u64_e32 v[18:19], v[22:23], v[20:21]
	v_add_co_u32 v16, vcc_lo, v12, v18
	s_delay_alu instid0(VALU_DEP_1) | instskip(NEXT) | instid1(VALU_DEP_1)
	v_add_co_ci_u32_e64 v12, null, v17, v19, vcc_lo
	v_dual_mov_b32 v19, v13 :: v_dual_mov_b32 v17, v12
	s_delay_alu instid0(VALU_DEP_1) | instskip(NEXT) | instid1(VALU_DEP_1)
	v_mul_u64_e32 v[14:15], v[14:15], v[16:17]
	v_dual_mov_b32 v17, v13 :: v_dual_mov_b32 v18, v15
	s_delay_alu instid0(VALU_DEP_2) | instskip(SKIP_2) | instid1(VALU_DEP_4)
	v_mov_b32_e32 v22, v14
	v_mul_hi_u32 v14, v16, v14
	v_mov_b32_e32 v15, v13
	v_mul_u64_e32 v[20:21], v[16:17], v[18:19]
	s_delay_alu instid0(VALU_DEP_4) | instskip(SKIP_1) | instid1(VALU_DEP_3)
	v_mul_u64_e32 v[22:23], v[12:13], v[22:23]
	v_mul_u64_e32 v[18:19], v[12:13], v[18:19]
	v_add_nc_u64_e32 v[14:15], v[14:15], v[20:21]
	v_mov_b32_e32 v21, v13
	s_delay_alu instid0(VALU_DEP_2) | instskip(NEXT) | instid1(VALU_DEP_3)
	v_add_co_u32 v1, vcc_lo, v14, v22
	v_add_co_ci_u32_e32 v20, vcc_lo, v15, v23, vcc_lo
	v_add_co_ci_u32_e32 v19, vcc_lo, 0, v19, vcc_lo
	s_delay_alu instid0(VALU_DEP_1) | instskip(SKIP_1) | instid1(VALU_DEP_2)
	v_add_nc_u64_e32 v[14:15], v[20:21], v[18:19]
	v_dual_mov_b32 v19, v13 :: v_dual_bitop2_b32 v18, v10, v24 bitop3:0x14
	v_add_co_u32 v14, vcc_lo, v16, v14
	s_delay_alu instid0(VALU_DEP_1) | instskip(SKIP_1) | instid1(VALU_DEP_2)
	v_add_co_ci_u32_e64 v12, null, v12, v15, vcc_lo
	v_dual_mov_b32 v15, v13 :: v_dual_bitop2_b32 v16, v11, v24 bitop3:0x14
	v_mul_u64_e32 v[20:21], v[18:19], v[12:13]
	s_delay_alu instid0(VALU_DEP_2) | instskip(SKIP_2) | instid1(VALU_DEP_1)
	v_mul_u64_e32 v[10:11], v[16:17], v[14:15]
	v_mul_u64_e32 v[22:23], v[16:17], v[12:13]
	v_mul_hi_u32 v14, v18, v14
	v_add_nc_u64_e32 v[14:15], v[14:15], v[20:21]
	s_delay_alu instid0(VALU_DEP_1) | instskip(NEXT) | instid1(VALU_DEP_2)
	v_add_co_u32 v1, vcc_lo, v14, v10
	v_add_co_ci_u32_e32 v12, vcc_lo, v15, v11, vcc_lo
	v_add_co_ci_u32_e32 v23, vcc_lo, 0, v23, vcc_lo
	s_delay_alu instid0(VALU_DEP_1) | instskip(NEXT) | instid1(VALU_DEP_1)
	v_add_nc_u64_e32 v[10:11], v[12:13], v[22:23]
	v_mul_u64_e32 v[12:13], v[8:9], v[10:11]
	s_delay_alu instid0(VALU_DEP_1) | instskip(NEXT) | instid1(VALU_DEP_2)
	v_sub_nc_u32_e32 v1, v16, v13
	v_sub_co_u32 v12, vcc_lo, v18, v12
	s_delay_alu instid0(VALU_DEP_1) | instskip(NEXT) | instid1(VALU_DEP_3)
	v_sub_co_ci_u32_e64 v16, null, v16, v13, vcc_lo
	v_sub_co_ci_u32_e64 v1, null, v1, v9, vcc_lo
	s_delay_alu instid0(VALU_DEP_3) | instskip(NEXT) | instid1(VALU_DEP_1)
	v_sub_co_u32 v14, s0, v12, v8
	v_subrev_co_ci_u32_e64 v1, null, 0, v1, s0
	s_delay_alu instid0(VALU_DEP_2) | instskip(SKIP_1) | instid1(VALU_DEP_3)
	v_cmp_ge_u32_e32 vcc_lo, v14, v8
	v_cndmask_b32_e64 v13, 0, -1, vcc_lo
	v_cmp_ge_u32_e32 vcc_lo, v1, v9
	v_cndmask_b32_e64 v14, 0, -1, vcc_lo
	;; [unrolled: 2-line block ×4, first 2 shown]
	v_cmp_eq_u32_e32 vcc_lo, v1, v9
	v_cndmask_b32_e32 v1, v14, v13, vcc_lo
	v_cmp_eq_u32_e32 vcc_lo, v16, v9
	v_add_nc_u64_e32 v[12:13], 2, v[10:11]
	v_add_nc_u64_e32 v[14:15], 1, v[10:11]
	v_cndmask_b32_e32 v8, v17, v8, vcc_lo
	v_cmp_ne_u32_e32 vcc_lo, 0, v1
	s_delay_alu instid0(VALU_DEP_2) | instskip(NEXT) | instid1(VALU_DEP_4)
	v_cmp_ne_u32_e64 s0, 0, v8
	v_dual_cndmask_b32 v1, v15, v13 :: v_dual_cndmask_b32 v8, v14, v12
	s_delay_alu instid0(VALU_DEP_1) | instskip(SKIP_1) | instid1(VALU_DEP_2)
	v_dual_cndmask_b32 v9, v11, v1, s0 :: v_dual_cndmask_b32 v8, v10, v8, s0
	v_mov_b32_e32 v1, v0
                                        ; implicit-def: $vgpr10_vgpr11
	v_xor_b32_e32 v9, v9, v0
	s_delay_alu instid0(VALU_DEP_3) | instskip(NEXT) | instid1(VALU_DEP_1)
	v_xor_b32_e32 v8, v8, v0
	v_sub_nc_u64_e32 v[0:1], v[8:9], v[0:1]
                                        ; implicit-def: $vgpr8_vgpr9
.LBB19_4:
	s_and_not1_saveexec_b32 s0, s2
	s_cbranch_execz .LBB19_6
; %bb.5:
	v_cvt_f32_u32_e32 v0, v8
	v_sub_nc_u32_e32 v1, 0, v8
	s_delay_alu instid0(VALU_DEP_2) | instskip(SKIP_1) | instid1(TRANS32_DEP_1)
	v_rcp_iflag_f32_e32 v0, v0
	v_nop
	v_mul_f32_e32 v0, 0x4f7ffffe, v0
	s_delay_alu instid0(VALU_DEP_1) | instskip(NEXT) | instid1(VALU_DEP_1)
	v_cvt_u32_f32_e32 v0, v0
	v_mul_lo_u32 v1, v1, v0
	s_delay_alu instid0(VALU_DEP_1) | instskip(NEXT) | instid1(VALU_DEP_1)
	v_mul_hi_u32 v1, v0, v1
	v_add_nc_u32_e32 v0, v0, v1
	s_delay_alu instid0(VALU_DEP_1) | instskip(NEXT) | instid1(VALU_DEP_1)
	v_mul_hi_u32 v0, v10, v0
	v_mul_lo_u32 v1, v0, v8
	s_delay_alu instid0(VALU_DEP_1) | instskip(NEXT) | instid1(VALU_DEP_1)
	v_sub_nc_u32_e32 v1, v10, v1
	v_sub_nc_u32_e32 v10, v1, v8
	v_cmp_ge_u32_e32 vcc_lo, v1, v8
	s_delay_alu instid0(VALU_DEP_2) | instskip(NEXT) | instid1(VALU_DEP_1)
	v_dual_add_nc_u32 v9, 1, v0 :: v_dual_cndmask_b32 v1, v1, v10, vcc_lo
	v_cndmask_b32_e32 v0, v0, v9, vcc_lo
	s_delay_alu instid0(VALU_DEP_2) | instskip(NEXT) | instid1(VALU_DEP_2)
	v_cmp_ge_u32_e32 vcc_lo, v1, v8
	v_dual_add_nc_u32 v9, 1, v0 :: v_dual_mov_b32 v1, 0
	s_delay_alu instid0(VALU_DEP_1)
	v_cndmask_b32_e32 v0, v0, v9, vcc_lo
.LBB19_6:
	s_or_b32 exec_lo, exec_lo, s0
	global_store_b64 v[6:7], v[0:1], off
	global_load_b64 v[8:9], v[4:5], off
.LBB19_7:
	s_wait_xcnt 0x0
	s_or_b32 exec_lo, exec_lo, s1
	global_load_b64 v[0:1], v[6:7], off offset:16
	s_wait_loadcnt 0x0
	v_mul_u64_e32 v[0:1], v[0:1], v[8:9]
	global_store_b128 v[4:5], v[0:3], off
	s_clause 0x1
	global_store_b64 v[6:7], v[0:1], off offset:24
	global_load_b64 v[0:1], v[6:7], off offset:8
	global_load_b64 v[2:3], v[4:5], off offset:24
	s_wait_loadcnt 0x0
	v_sub_nc_u64_e32 v[0:1], v[2:3], v[0:1]
	global_store_b64 v[4:5], v[0:1], off offset:24
.LBB19_8:
	s_endpgm
	.section	.rodata,"a",@progbits
	.p2align	6, 0x0
	.amdhsa_kernel _Z17testOperationsGPUI15HIP_vector_typeIlLj4EES0_IlLj1EEEvPT_S4_i
		.amdhsa_group_segment_fixed_size 0
		.amdhsa_private_segment_fixed_size 0
		.amdhsa_kernarg_size 20
		.amdhsa_user_sgpr_count 2
		.amdhsa_user_sgpr_dispatch_ptr 0
		.amdhsa_user_sgpr_queue_ptr 0
		.amdhsa_user_sgpr_kernarg_segment_ptr 1
		.amdhsa_user_sgpr_dispatch_id 0
		.amdhsa_user_sgpr_kernarg_preload_length 0
		.amdhsa_user_sgpr_kernarg_preload_offset 0
		.amdhsa_user_sgpr_private_segment_size 0
		.amdhsa_wavefront_size32 1
		.amdhsa_uses_dynamic_stack 0
		.amdhsa_enable_private_segment 0
		.amdhsa_system_sgpr_workgroup_id_x 1
		.amdhsa_system_sgpr_workgroup_id_y 0
		.amdhsa_system_sgpr_workgroup_id_z 0
		.amdhsa_system_sgpr_workgroup_info 0
		.amdhsa_system_vgpr_workitem_id 0
		.amdhsa_next_free_vgpr 28
		.amdhsa_next_free_sgpr 4
		.amdhsa_named_barrier_count 0
		.amdhsa_reserve_vcc 1
		.amdhsa_float_round_mode_32 0
		.amdhsa_float_round_mode_16_64 0
		.amdhsa_float_denorm_mode_32 3
		.amdhsa_float_denorm_mode_16_64 3
		.amdhsa_fp16_overflow 0
		.amdhsa_memory_ordered 1
		.amdhsa_forward_progress 1
		.amdhsa_inst_pref_size 10
		.amdhsa_round_robin_scheduling 0
		.amdhsa_exception_fp_ieee_invalid_op 0
		.amdhsa_exception_fp_denorm_src 0
		.amdhsa_exception_fp_ieee_div_zero 0
		.amdhsa_exception_fp_ieee_overflow 0
		.amdhsa_exception_fp_ieee_underflow 0
		.amdhsa_exception_fp_ieee_inexact 0
		.amdhsa_exception_int_div_zero 0
	.end_amdhsa_kernel
	.section	.text._Z17testOperationsGPUI15HIP_vector_typeIlLj4EES0_IlLj1EEEvPT_S4_i,"axG",@progbits,_Z17testOperationsGPUI15HIP_vector_typeIlLj4EES0_IlLj1EEEvPT_S4_i,comdat
.Lfunc_end19:
	.size	_Z17testOperationsGPUI15HIP_vector_typeIlLj4EES0_IlLj1EEEvPT_S4_i, .Lfunc_end19-_Z17testOperationsGPUI15HIP_vector_typeIlLj4EES0_IlLj1EEEvPT_S4_i
                                        ; -- End function
	.set _Z17testOperationsGPUI15HIP_vector_typeIlLj4EES0_IlLj1EEEvPT_S4_i.num_vgpr, 28
	.set _Z17testOperationsGPUI15HIP_vector_typeIlLj4EES0_IlLj1EEEvPT_S4_i.num_agpr, 0
	.set _Z17testOperationsGPUI15HIP_vector_typeIlLj4EES0_IlLj1EEEvPT_S4_i.numbered_sgpr, 4
	.set _Z17testOperationsGPUI15HIP_vector_typeIlLj4EES0_IlLj1EEEvPT_S4_i.num_named_barrier, 0
	.set _Z17testOperationsGPUI15HIP_vector_typeIlLj4EES0_IlLj1EEEvPT_S4_i.private_seg_size, 0
	.set _Z17testOperationsGPUI15HIP_vector_typeIlLj4EES0_IlLj1EEEvPT_S4_i.uses_vcc, 1
	.set _Z17testOperationsGPUI15HIP_vector_typeIlLj4EES0_IlLj1EEEvPT_S4_i.uses_flat_scratch, 0
	.set _Z17testOperationsGPUI15HIP_vector_typeIlLj4EES0_IlLj1EEEvPT_S4_i.has_dyn_sized_stack, 0
	.set _Z17testOperationsGPUI15HIP_vector_typeIlLj4EES0_IlLj1EEEvPT_S4_i.has_recursion, 0
	.set _Z17testOperationsGPUI15HIP_vector_typeIlLj4EES0_IlLj1EEEvPT_S4_i.has_indirect_call, 0
	.section	.AMDGPU.csdata,"",@progbits
; Kernel info:
; codeLenInByte = 1180
; TotalNumSgprs: 6
; NumVgprs: 28
; ScratchSize: 0
; MemoryBound: 0
; FloatMode: 240
; IeeeMode: 1
; LDSByteSize: 0 bytes/workgroup (compile time only)
; SGPRBlocks: 0
; VGPRBlocks: 1
; NumSGPRsForWavesPerEU: 6
; NumVGPRsForWavesPerEU: 28
; NamedBarCnt: 0
; Occupancy: 16
; WaveLimiterHint : 0
; COMPUTE_PGM_RSRC2:SCRATCH_EN: 0
; COMPUTE_PGM_RSRC2:USER_SGPR: 2
; COMPUTE_PGM_RSRC2:TRAP_HANDLER: 0
; COMPUTE_PGM_RSRC2:TGID_X_EN: 1
; COMPUTE_PGM_RSRC2:TGID_Y_EN: 0
; COMPUTE_PGM_RSRC2:TGID_Z_EN: 0
; COMPUTE_PGM_RSRC2:TIDIG_COMP_CNT: 0
	.section	.text._Z17testOperationsGPUI15HIP_vector_typeIxLj1EES1_EvPT_S3_i,"axG",@progbits,_Z17testOperationsGPUI15HIP_vector_typeIxLj1EES1_EvPT_S3_i,comdat
	.protected	_Z17testOperationsGPUI15HIP_vector_typeIxLj1EES1_EvPT_S3_i ; -- Begin function _Z17testOperationsGPUI15HIP_vector_typeIxLj1EES1_EvPT_S3_i
	.globl	_Z17testOperationsGPUI15HIP_vector_typeIxLj1EES1_EvPT_S3_i
	.p2align	8
	.type	_Z17testOperationsGPUI15HIP_vector_typeIxLj1EES1_EvPT_S3_i,@function
_Z17testOperationsGPUI15HIP_vector_typeIxLj1EES1_EvPT_S3_i: ; @_Z17testOperationsGPUI15HIP_vector_typeIxLj1EES1_EvPT_S3_i
; %bb.0:
	s_load_b32 s2, s[0:1], 0x10
	s_wait_kmcnt 0x0
	v_cmp_ge_i32_e32 vcc_lo, s2, v0
	s_and_saveexec_b32 s2, vcc_lo
	s_cbranch_execz .LBB20_2
; %bb.1:
	s_load_b128 s[0:3], s[0:1], 0x0
	s_wait_kmcnt 0x0
	s_clause 0x1
	global_load_b64 v[2:3], v0, s[2:3] scale_offset
	global_load_b64 v[4:5], v0, s[0:1] scale_offset
	s_wait_loadcnt 0x0
	v_add_nc_u64_e32 v[2:3], v[2:3], v[4:5]
	s_delay_alu instid0(VALU_DEP_1)
	v_add_nc_u64_e32 v[2:3], 1, v[2:3]
	s_clause 0x1
	global_store_b64 v0, v[2:3], s[0:1] scale_offset
	global_load_b64 v[2:3], v0, s[2:3] scale_offset
	s_wait_loadcnt 0x0
	v_add_nc_u64_e32 v[2:3], 1, v[2:3]
	global_store_b64 v0, v[2:3], s[2:3] scale_offset
.LBB20_2:
	s_endpgm
	.section	.rodata,"a",@progbits
	.p2align	6, 0x0
	.amdhsa_kernel _Z17testOperationsGPUI15HIP_vector_typeIxLj1EES1_EvPT_S3_i
		.amdhsa_group_segment_fixed_size 0
		.amdhsa_private_segment_fixed_size 0
		.amdhsa_kernarg_size 20
		.amdhsa_user_sgpr_count 2
		.amdhsa_user_sgpr_dispatch_ptr 0
		.amdhsa_user_sgpr_queue_ptr 0
		.amdhsa_user_sgpr_kernarg_segment_ptr 1
		.amdhsa_user_sgpr_dispatch_id 0
		.amdhsa_user_sgpr_kernarg_preload_length 0
		.amdhsa_user_sgpr_kernarg_preload_offset 0
		.amdhsa_user_sgpr_private_segment_size 0
		.amdhsa_wavefront_size32 1
		.amdhsa_uses_dynamic_stack 0
		.amdhsa_enable_private_segment 0
		.amdhsa_system_sgpr_workgroup_id_x 1
		.amdhsa_system_sgpr_workgroup_id_y 0
		.amdhsa_system_sgpr_workgroup_id_z 0
		.amdhsa_system_sgpr_workgroup_info 0
		.amdhsa_system_vgpr_workitem_id 0
		.amdhsa_next_free_vgpr 6
		.amdhsa_next_free_sgpr 4
		.amdhsa_named_barrier_count 0
		.amdhsa_reserve_vcc 1
		.amdhsa_float_round_mode_32 0
		.amdhsa_float_round_mode_16_64 0
		.amdhsa_float_denorm_mode_32 3
		.amdhsa_float_denorm_mode_16_64 3
		.amdhsa_fp16_overflow 0
		.amdhsa_memory_ordered 1
		.amdhsa_forward_progress 1
		.amdhsa_inst_pref_size 2
		.amdhsa_round_robin_scheduling 0
		.amdhsa_exception_fp_ieee_invalid_op 0
		.amdhsa_exception_fp_denorm_src 0
		.amdhsa_exception_fp_ieee_div_zero 0
		.amdhsa_exception_fp_ieee_overflow 0
		.amdhsa_exception_fp_ieee_underflow 0
		.amdhsa_exception_fp_ieee_inexact 0
		.amdhsa_exception_int_div_zero 0
	.end_amdhsa_kernel
	.section	.text._Z17testOperationsGPUI15HIP_vector_typeIxLj1EES1_EvPT_S3_i,"axG",@progbits,_Z17testOperationsGPUI15HIP_vector_typeIxLj1EES1_EvPT_S3_i,comdat
.Lfunc_end20:
	.size	_Z17testOperationsGPUI15HIP_vector_typeIxLj1EES1_EvPT_S3_i, .Lfunc_end20-_Z17testOperationsGPUI15HIP_vector_typeIxLj1EES1_EvPT_S3_i
                                        ; -- End function
	.set _Z17testOperationsGPUI15HIP_vector_typeIxLj1EES1_EvPT_S3_i.num_vgpr, 6
	.set _Z17testOperationsGPUI15HIP_vector_typeIxLj1EES1_EvPT_S3_i.num_agpr, 0
	.set _Z17testOperationsGPUI15HIP_vector_typeIxLj1EES1_EvPT_S3_i.numbered_sgpr, 4
	.set _Z17testOperationsGPUI15HIP_vector_typeIxLj1EES1_EvPT_S3_i.num_named_barrier, 0
	.set _Z17testOperationsGPUI15HIP_vector_typeIxLj1EES1_EvPT_S3_i.private_seg_size, 0
	.set _Z17testOperationsGPUI15HIP_vector_typeIxLj1EES1_EvPT_S3_i.uses_vcc, 1
	.set _Z17testOperationsGPUI15HIP_vector_typeIxLj1EES1_EvPT_S3_i.uses_flat_scratch, 0
	.set _Z17testOperationsGPUI15HIP_vector_typeIxLj1EES1_EvPT_S3_i.has_dyn_sized_stack, 0
	.set _Z17testOperationsGPUI15HIP_vector_typeIxLj1EES1_EvPT_S3_i.has_recursion, 0
	.set _Z17testOperationsGPUI15HIP_vector_typeIxLj1EES1_EvPT_S3_i.has_indirect_call, 0
	.section	.AMDGPU.csdata,"",@progbits
; Kernel info:
; codeLenInByte = 132
; TotalNumSgprs: 6
; NumVgprs: 6
; ScratchSize: 0
; MemoryBound: 0
; FloatMode: 240
; IeeeMode: 1
; LDSByteSize: 0 bytes/workgroup (compile time only)
; SGPRBlocks: 0
; VGPRBlocks: 0
; NumSGPRsForWavesPerEU: 6
; NumVGPRsForWavesPerEU: 6
; NamedBarCnt: 0
; Occupancy: 16
; WaveLimiterHint : 0
; COMPUTE_PGM_RSRC2:SCRATCH_EN: 0
; COMPUTE_PGM_RSRC2:USER_SGPR: 2
; COMPUTE_PGM_RSRC2:TRAP_HANDLER: 0
; COMPUTE_PGM_RSRC2:TGID_X_EN: 1
; COMPUTE_PGM_RSRC2:TGID_Y_EN: 0
; COMPUTE_PGM_RSRC2:TGID_Z_EN: 0
; COMPUTE_PGM_RSRC2:TIDIG_COMP_CNT: 0
	.section	.text._Z17testOperationsGPUI15HIP_vector_typeIxLj2EES0_IxLj1EEEvPT_S4_i,"axG",@progbits,_Z17testOperationsGPUI15HIP_vector_typeIxLj2EES0_IxLj1EEEvPT_S4_i,comdat
	.protected	_Z17testOperationsGPUI15HIP_vector_typeIxLj2EES0_IxLj1EEEvPT_S4_i ; -- Begin function _Z17testOperationsGPUI15HIP_vector_typeIxLj2EES0_IxLj1EEEvPT_S4_i
	.globl	_Z17testOperationsGPUI15HIP_vector_typeIxLj2EES0_IxLj1EEEvPT_S4_i
	.p2align	8
	.type	_Z17testOperationsGPUI15HIP_vector_typeIxLj2EES0_IxLj1EEEvPT_S4_i,@function
_Z17testOperationsGPUI15HIP_vector_typeIxLj2EES0_IxLj1EEEvPT_S4_i: ; @_Z17testOperationsGPUI15HIP_vector_typeIxLj2EES0_IxLj1EEEvPT_S4_i
; %bb.0:
	s_load_b32 s2, s[0:1], 0x10
	s_wait_kmcnt 0x0
	v_cmp_ge_i32_e32 vcc_lo, s2, v0
	s_and_saveexec_b32 s2, vcc_lo
	s_cbranch_execz .LBB21_2
; %bb.1:
	s_load_b128 s[0:3], s[0:1], 0x0
	v_lshlrev_b32_e32 v4, 4, v0
	s_wait_kmcnt 0x0
	s_clause 0x1
	global_load_b64 v[0:1], v4, s[2:3]
	global_load_b64 v[2:3], v4, s[0:1]
	s_wait_loadcnt 0x0
	v_add_nc_u64_e32 v[0:1], v[0:1], v[2:3]
	s_delay_alu instid0(VALU_DEP_1)
	v_add_nc_u64_e32 v[0:1], 1, v[0:1]
	s_clause 0x1
	global_store_b64 v4, v[0:1], s[0:1]
	global_load_b64 v[0:1], v4, s[2:3]
	s_wait_loadcnt 0x0
	v_add_nc_u64_e32 v[0:1], 1, v[0:1]
	s_clause 0x2
	global_store_b64 v4, v[0:1], s[0:1] offset:8
	global_load_b64 v[2:3], v4, s[2:3] offset:8
	global_store_b64 v4, v[0:1], s[2:3]
	s_wait_loadcnt 0x0
	global_store_b64 v4, v[2:3], s[0:1]
.LBB21_2:
	s_endpgm
	.section	.rodata,"a",@progbits
	.p2align	6, 0x0
	.amdhsa_kernel _Z17testOperationsGPUI15HIP_vector_typeIxLj2EES0_IxLj1EEEvPT_S4_i
		.amdhsa_group_segment_fixed_size 0
		.amdhsa_private_segment_fixed_size 0
		.amdhsa_kernarg_size 20
		.amdhsa_user_sgpr_count 2
		.amdhsa_user_sgpr_dispatch_ptr 0
		.amdhsa_user_sgpr_queue_ptr 0
		.amdhsa_user_sgpr_kernarg_segment_ptr 1
		.amdhsa_user_sgpr_dispatch_id 0
		.amdhsa_user_sgpr_kernarg_preload_length 0
		.amdhsa_user_sgpr_kernarg_preload_offset 0
		.amdhsa_user_sgpr_private_segment_size 0
		.amdhsa_wavefront_size32 1
		.amdhsa_uses_dynamic_stack 0
		.amdhsa_enable_private_segment 0
		.amdhsa_system_sgpr_workgroup_id_x 1
		.amdhsa_system_sgpr_workgroup_id_y 0
		.amdhsa_system_sgpr_workgroup_id_z 0
		.amdhsa_system_sgpr_workgroup_info 0
		.amdhsa_system_vgpr_workitem_id 0
		.amdhsa_next_free_vgpr 5
		.amdhsa_next_free_sgpr 4
		.amdhsa_named_barrier_count 0
		.amdhsa_reserve_vcc 1
		.amdhsa_float_round_mode_32 0
		.amdhsa_float_round_mode_16_64 0
		.amdhsa_float_denorm_mode_32 3
		.amdhsa_float_denorm_mode_16_64 3
		.amdhsa_fp16_overflow 0
		.amdhsa_memory_ordered 1
		.amdhsa_forward_progress 1
		.amdhsa_inst_pref_size 2
		.amdhsa_round_robin_scheduling 0
		.amdhsa_exception_fp_ieee_invalid_op 0
		.amdhsa_exception_fp_denorm_src 0
		.amdhsa_exception_fp_ieee_div_zero 0
		.amdhsa_exception_fp_ieee_overflow 0
		.amdhsa_exception_fp_ieee_underflow 0
		.amdhsa_exception_fp_ieee_inexact 0
		.amdhsa_exception_int_div_zero 0
	.end_amdhsa_kernel
	.section	.text._Z17testOperationsGPUI15HIP_vector_typeIxLj2EES0_IxLj1EEEvPT_S4_i,"axG",@progbits,_Z17testOperationsGPUI15HIP_vector_typeIxLj2EES0_IxLj1EEEvPT_S4_i,comdat
.Lfunc_end21:
	.size	_Z17testOperationsGPUI15HIP_vector_typeIxLj2EES0_IxLj1EEEvPT_S4_i, .Lfunc_end21-_Z17testOperationsGPUI15HIP_vector_typeIxLj2EES0_IxLj1EEEvPT_S4_i
                                        ; -- End function
	.set _Z17testOperationsGPUI15HIP_vector_typeIxLj2EES0_IxLj1EEEvPT_S4_i.num_vgpr, 5
	.set _Z17testOperationsGPUI15HIP_vector_typeIxLj2EES0_IxLj1EEEvPT_S4_i.num_agpr, 0
	.set _Z17testOperationsGPUI15HIP_vector_typeIxLj2EES0_IxLj1EEEvPT_S4_i.numbered_sgpr, 4
	.set _Z17testOperationsGPUI15HIP_vector_typeIxLj2EES0_IxLj1EEEvPT_S4_i.num_named_barrier, 0
	.set _Z17testOperationsGPUI15HIP_vector_typeIxLj2EES0_IxLj1EEEvPT_S4_i.private_seg_size, 0
	.set _Z17testOperationsGPUI15HIP_vector_typeIxLj2EES0_IxLj1EEEvPT_S4_i.uses_vcc, 1
	.set _Z17testOperationsGPUI15HIP_vector_typeIxLj2EES0_IxLj1EEEvPT_S4_i.uses_flat_scratch, 0
	.set _Z17testOperationsGPUI15HIP_vector_typeIxLj2EES0_IxLj1EEEvPT_S4_i.has_dyn_sized_stack, 0
	.set _Z17testOperationsGPUI15HIP_vector_typeIxLj2EES0_IxLj1EEEvPT_S4_i.has_recursion, 0
	.set _Z17testOperationsGPUI15HIP_vector_typeIxLj2EES0_IxLj1EEEvPT_S4_i.has_indirect_call, 0
	.section	.AMDGPU.csdata,"",@progbits
; Kernel info:
; codeLenInByte = 180
; TotalNumSgprs: 6
; NumVgprs: 5
; ScratchSize: 0
; MemoryBound: 1
; FloatMode: 240
; IeeeMode: 1
; LDSByteSize: 0 bytes/workgroup (compile time only)
; SGPRBlocks: 0
; VGPRBlocks: 0
; NumSGPRsForWavesPerEU: 6
; NumVGPRsForWavesPerEU: 5
; NamedBarCnt: 0
; Occupancy: 16
; WaveLimiterHint : 1
; COMPUTE_PGM_RSRC2:SCRATCH_EN: 0
; COMPUTE_PGM_RSRC2:USER_SGPR: 2
; COMPUTE_PGM_RSRC2:TRAP_HANDLER: 0
; COMPUTE_PGM_RSRC2:TGID_X_EN: 1
; COMPUTE_PGM_RSRC2:TGID_Y_EN: 0
; COMPUTE_PGM_RSRC2:TGID_Z_EN: 0
; COMPUTE_PGM_RSRC2:TIDIG_COMP_CNT: 0
	.section	.text._Z17testOperationsGPUI15HIP_vector_typeIxLj3EES0_IxLj1EEEvPT_S4_i,"axG",@progbits,_Z17testOperationsGPUI15HIP_vector_typeIxLj3EES0_IxLj1EEEvPT_S4_i,comdat
	.protected	_Z17testOperationsGPUI15HIP_vector_typeIxLj3EES0_IxLj1EEEvPT_S4_i ; -- Begin function _Z17testOperationsGPUI15HIP_vector_typeIxLj3EES0_IxLj1EEEvPT_S4_i
	.globl	_Z17testOperationsGPUI15HIP_vector_typeIxLj3EES0_IxLj1EEEvPT_S4_i
	.p2align	8
	.type	_Z17testOperationsGPUI15HIP_vector_typeIxLj3EES0_IxLj1EEEvPT_S4_i,@function
_Z17testOperationsGPUI15HIP_vector_typeIxLj3EES0_IxLj1EEEvPT_S4_i: ; @_Z17testOperationsGPUI15HIP_vector_typeIxLj3EES0_IxLj1EEEvPT_S4_i
; %bb.0:
	s_load_b32 s2, s[0:1], 0x10
	s_wait_kmcnt 0x0
	v_cmp_ge_i32_e32 vcc_lo, s2, v0
	s_and_saveexec_b32 s2, vcc_lo
	s_cbranch_execz .LBB22_8
; %bb.1:
	s_load_b128 s[0:3], s[0:1], 0x0
	s_wait_kmcnt 0x0
	v_mad_nc_u64_u32 v[6:7], v0, 24, s[2:3]
	v_mad_nc_u64_u32 v[4:5], v0, 24, s[0:1]
	s_mov_b32 s1, exec_lo
	global_load_b64 v[0:1], v[6:7], off
	global_load_b64 v[2:3], v[4:5], off
	s_wait_loadcnt 0x0
	v_add_nc_u64_e32 v[0:1], v[0:1], v[2:3]
	s_delay_alu instid0(VALU_DEP_1)
	v_add_nc_u64_e32 v[0:1], 1, v[0:1]
	global_store_b64 v[4:5], v[0:1], off
	global_load_b64 v[2:3], v[6:7], off
	s_wait_loadcnt 0x0
	s_wait_xcnt 0x1
	v_add_nc_u64_e32 v[0:1], 1, v[2:3]
	global_store_b64 v[4:5], v[0:1], off offset:8
	s_clause 0x1
	global_load_b64 v[8:9], v[6:7], off offset:8
	global_store_b64 v[6:7], v[0:1], off
	s_wait_loadcnt 0x0
	global_store_b64 v[4:5], v[8:9], off
	s_wait_xcnt 0x0
	v_cmpx_lt_i64_e32 0, v[8:9]
	s_cbranch_execz .LBB22_7
; %bb.2:
	global_load_b64 v[12:13], v[6:7], off
                                        ; implicit-def: $vgpr0_vgpr1
	s_mov_b32 s0, exec_lo
	s_wait_loadcnt 0x0
	v_dual_mov_b32 v10, 0 :: v_dual_bitop2_b32 v11, v13, v9 bitop3:0x54
	s_wait_xcnt 0x0
	s_delay_alu instid0(VALU_DEP_1)
	v_cmpx_ne_u64_e32 0, v[10:11]
	s_xor_b32 s2, exec_lo, s0
	s_cbranch_execz .LBB22_4
; %bb.3:
	v_dual_mov_b32 v15, v10 :: v_dual_ashrrev_i32 v0, 31, v9
	v_dual_mov_b32 v23, v10 :: v_dual_mov_b32 v25, v10
	s_delay_alu instid0(VALU_DEP_2) | instskip(NEXT) | instid1(VALU_DEP_1)
	v_mov_b32_e32 v1, v0
	v_add_nc_u64_e32 v[8:9], v[8:9], v[0:1]
	s_delay_alu instid0(VALU_DEP_1) | instskip(NEXT) | instid1(VALU_DEP_2)
	v_xor_b32_e32 v8, v8, v0
	v_xor_b32_e32 v9, v9, v0
	s_delay_alu instid0(VALU_DEP_2) | instskip(NEXT) | instid1(VALU_DEP_2)
	v_cvt_f32_u32_e32 v1, v8
	v_cvt_f32_u32_e32 v11, v9
	s_delay_alu instid0(VALU_DEP_1) | instskip(NEXT) | instid1(VALU_DEP_1)
	v_fmamk_f32 v1, v11, 0x4f800000, v1
	v_rcp_f32_e32 v1, v1
	v_nop
	s_delay_alu instid0(TRANS32_DEP_1) | instskip(NEXT) | instid1(VALU_DEP_1)
	v_mul_f32_e32 v1, 0x5f7ffffc, v1
	v_mul_f32_e32 v11, 0x2f800000, v1
	s_delay_alu instid0(VALU_DEP_1) | instskip(NEXT) | instid1(VALU_DEP_1)
	v_trunc_f32_e32 v11, v11
	v_fmamk_f32 v1, v11, 0xcf800000, v1
	v_cvt_u32_f32_e32 v19, v11
	v_mov_b32_e32 v11, v10
	s_delay_alu instid0(VALU_DEP_3) | instskip(NEXT) | instid1(VALU_DEP_1)
	v_cvt_u32_f32_e32 v14, v1
	v_dual_mov_b32 v24, v19 :: v_dual_mov_b32 v18, v14
	v_sub_nc_u64_e32 v[16:17], 0, v[8:9]
	s_delay_alu instid0(VALU_DEP_1) | instskip(NEXT) | instid1(VALU_DEP_1)
	v_mul_u64_e32 v[20:21], v[16:17], v[18:19]
	v_dual_mov_b32 v22, v21 :: v_dual_mov_b32 v21, v10
	s_delay_alu instid0(VALU_DEP_1) | instskip(NEXT) | instid1(VALU_DEP_2)
	v_mul_u64_e32 v[26:27], v[14:15], v[22:23]
	v_mul_u64_e32 v[28:29], v[24:25], v[20:21]
	;; [unrolled: 1-line block ×3, first 2 shown]
	v_mul_hi_u32 v20, v14, v20
	s_delay_alu instid0(VALU_DEP_1) | instskip(SKIP_1) | instid1(VALU_DEP_2)
	v_add_nc_u64_e32 v[20:21], v[20:21], v[26:27]
	v_ashrrev_i32_e32 v26, 31, v13
	v_add_co_u32 v1, vcc_lo, v20, v28
	s_delay_alu instid0(VALU_DEP_3) | instskip(SKIP_1) | instid1(VALU_DEP_1)
	v_add_co_ci_u32_e32 v24, vcc_lo, v21, v29, vcc_lo
	v_add_co_ci_u32_e32 v23, vcc_lo, 0, v23, vcc_lo
	v_add_nc_u64_e32 v[20:21], v[24:25], v[22:23]
	s_delay_alu instid0(VALU_DEP_1) | instskip(NEXT) | instid1(VALU_DEP_1)
	v_add_co_u32 v14, vcc_lo, v14, v20
	v_add_co_ci_u32_e64 v18, null, v19, v21, vcc_lo
	v_dual_mov_b32 v21, v10 :: v_dual_mov_b32 v19, v10
	s_delay_alu instid0(VALU_DEP_2) | instskip(NEXT) | instid1(VALU_DEP_1)
	v_mov_b32_e32 v15, v18
	v_mul_u64_e32 v[16:17], v[16:17], v[14:15]
	s_delay_alu instid0(VALU_DEP_1) | instskip(NEXT) | instid1(VALU_DEP_2)
	v_dual_mov_b32 v15, v10 :: v_dual_mov_b32 v20, v17
	v_dual_mov_b32 v24, v16 :: v_dual_mov_b32 v17, v10
	v_mul_hi_u32 v16, v14, v16
	s_delay_alu instid0(VALU_DEP_3) | instskip(NEXT) | instid1(VALU_DEP_3)
	v_mul_u64_e32 v[22:23], v[14:15], v[20:21]
	v_mul_u64_e32 v[24:25], v[18:19], v[24:25]
	;; [unrolled: 1-line block ×3, first 2 shown]
	s_delay_alu instid0(VALU_DEP_3) | instskip(SKIP_2) | instid1(VALU_DEP_3)
	v_add_nc_u64_e32 v[16:17], v[16:17], v[22:23]
	v_dual_mov_b32 v23, v10 :: v_dual_mov_b32 v27, v26
	v_xor_b32_e32 v0, v26, v0
	v_add_co_u32 v1, vcc_lo, v16, v24
	s_delay_alu instid0(VALU_DEP_4) | instskip(SKIP_1) | instid1(VALU_DEP_1)
	v_add_co_ci_u32_e32 v22, vcc_lo, v17, v25, vcc_lo
	v_add_co_ci_u32_e32 v21, vcc_lo, 0, v21, vcc_lo
	v_add_nc_u64_e32 v[16:17], v[22:23], v[20:21]
	v_mov_b32_e32 v21, v10
	v_add_nc_u64_e32 v[12:13], v[12:13], v[26:27]
	s_delay_alu instid0(VALU_DEP_3) | instskip(NEXT) | instid1(VALU_DEP_2)
	v_add_co_u32 v16, vcc_lo, v14, v16
	v_xor_b32_e32 v20, v12, v26
	v_add_co_ci_u32_e64 v14, null, v18, v17, vcc_lo
	s_delay_alu instid0(VALU_DEP_4) | instskip(NEXT) | instid1(VALU_DEP_2)
	v_dual_mov_b32 v17, v10 :: v_dual_bitop2_b32 v18, v13, v26 bitop3:0x14
	v_mul_u64_e32 v[22:23], v[20:21], v[14:15]
	s_delay_alu instid0(VALU_DEP_2) | instskip(SKIP_2) | instid1(VALU_DEP_1)
	v_mul_u64_e32 v[12:13], v[18:19], v[16:17]
	v_mul_u64_e32 v[14:15], v[18:19], v[14:15]
	v_mul_hi_u32 v16, v20, v16
	v_add_nc_u64_e32 v[16:17], v[16:17], v[22:23]
	s_delay_alu instid0(VALU_DEP_1) | instskip(NEXT) | instid1(VALU_DEP_2)
	v_add_co_u32 v1, vcc_lo, v16, v12
	v_add_co_ci_u32_e32 v10, vcc_lo, v17, v13, vcc_lo
	v_add_co_ci_u32_e32 v15, vcc_lo, 0, v15, vcc_lo
	s_delay_alu instid0(VALU_DEP_1) | instskip(NEXT) | instid1(VALU_DEP_1)
	v_add_nc_u64_e32 v[10:11], v[10:11], v[14:15]
	v_mul_u64_e32 v[12:13], v[8:9], v[10:11]
	s_delay_alu instid0(VALU_DEP_1) | instskip(NEXT) | instid1(VALU_DEP_2)
	v_sub_nc_u32_e32 v1, v18, v13
	v_sub_co_u32 v12, vcc_lo, v20, v12
	s_delay_alu instid0(VALU_DEP_1) | instskip(NEXT) | instid1(VALU_DEP_3)
	v_sub_co_ci_u32_e64 v16, null, v18, v13, vcc_lo
	v_sub_co_ci_u32_e64 v1, null, v1, v9, vcc_lo
	s_delay_alu instid0(VALU_DEP_3) | instskip(NEXT) | instid1(VALU_DEP_1)
	v_sub_co_u32 v14, s0, v12, v8
	v_subrev_co_ci_u32_e64 v1, null, 0, v1, s0
	s_delay_alu instid0(VALU_DEP_2) | instskip(SKIP_1) | instid1(VALU_DEP_3)
	v_cmp_ge_u32_e32 vcc_lo, v14, v8
	v_cndmask_b32_e64 v13, 0, -1, vcc_lo
	v_cmp_ge_u32_e32 vcc_lo, v1, v9
	v_cndmask_b32_e64 v14, 0, -1, vcc_lo
	v_cmp_ge_u32_e32 vcc_lo, v12, v8
	v_cndmask_b32_e64 v8, 0, -1, vcc_lo
	v_cmp_ge_u32_e32 vcc_lo, v16, v9
	v_cndmask_b32_e64 v17, 0, -1, vcc_lo
	v_cmp_eq_u32_e32 vcc_lo, v1, v9
	v_cndmask_b32_e32 v1, v14, v13, vcc_lo
	v_cmp_eq_u32_e32 vcc_lo, v16, v9
	v_add_nc_u64_e32 v[12:13], 2, v[10:11]
	v_add_nc_u64_e32 v[14:15], 1, v[10:11]
	v_cndmask_b32_e32 v8, v17, v8, vcc_lo
	v_cmp_ne_u32_e32 vcc_lo, 0, v1
	s_delay_alu instid0(VALU_DEP_2) | instskip(NEXT) | instid1(VALU_DEP_4)
	v_cmp_ne_u32_e64 s0, 0, v8
	v_dual_cndmask_b32 v1, v15, v13 :: v_dual_cndmask_b32 v8, v14, v12
                                        ; implicit-def: $vgpr12_vgpr13
	s_delay_alu instid0(VALU_DEP_1) | instskip(NEXT) | instid1(VALU_DEP_1)
	v_dual_cndmask_b32 v9, v11, v1, s0 :: v_dual_cndmask_b32 v8, v10, v8, s0
	v_dual_mov_b32 v1, v0 :: v_dual_bitop2_b32 v9, v9, v0 bitop3:0x14
	s_delay_alu instid0(VALU_DEP_2) | instskip(NEXT) | instid1(VALU_DEP_1)
	v_xor_b32_e32 v8, v8, v0
	v_sub_nc_u64_e32 v[0:1], v[8:9], v[0:1]
                                        ; implicit-def: $vgpr8_vgpr9
.LBB22_4:
	s_and_not1_saveexec_b32 s0, s2
	s_cbranch_execz .LBB22_6
; %bb.5:
	v_cvt_f32_u32_e32 v0, v8
	v_sub_nc_u32_e32 v1, 0, v8
	s_delay_alu instid0(VALU_DEP_2) | instskip(SKIP_1) | instid1(TRANS32_DEP_1)
	v_rcp_iflag_f32_e32 v0, v0
	v_nop
	v_mul_f32_e32 v0, 0x4f7ffffe, v0
	s_delay_alu instid0(VALU_DEP_1) | instskip(NEXT) | instid1(VALU_DEP_1)
	v_cvt_u32_f32_e32 v0, v0
	v_mul_lo_u32 v1, v1, v0
	s_delay_alu instid0(VALU_DEP_1) | instskip(NEXT) | instid1(VALU_DEP_1)
	v_mul_hi_u32 v1, v0, v1
	v_add_nc_u32_e32 v0, v0, v1
	s_delay_alu instid0(VALU_DEP_1) | instskip(NEXT) | instid1(VALU_DEP_1)
	v_mul_hi_u32 v0, v12, v0
	v_mul_lo_u32 v1, v0, v8
	s_delay_alu instid0(VALU_DEP_1) | instskip(NEXT) | instid1(VALU_DEP_1)
	v_sub_nc_u32_e32 v1, v12, v1
	v_sub_nc_u32_e32 v10, v1, v8
	v_cmp_ge_u32_e32 vcc_lo, v1, v8
	s_delay_alu instid0(VALU_DEP_2) | instskip(NEXT) | instid1(VALU_DEP_1)
	v_dual_add_nc_u32 v9, 1, v0 :: v_dual_cndmask_b32 v1, v1, v10, vcc_lo
	v_cndmask_b32_e32 v0, v0, v9, vcc_lo
	s_delay_alu instid0(VALU_DEP_2) | instskip(NEXT) | instid1(VALU_DEP_2)
	v_cmp_ge_u32_e32 vcc_lo, v1, v8
	v_dual_add_nc_u32 v9, 1, v0 :: v_dual_mov_b32 v1, 0
	s_delay_alu instid0(VALU_DEP_1)
	v_cndmask_b32_e32 v0, v0, v9, vcc_lo
.LBB22_6:
	s_or_b32 exec_lo, exec_lo, s0
	global_store_b64 v[6:7], v[0:1], off
	global_load_b64 v[8:9], v[4:5], off
.LBB22_7:
	s_wait_xcnt 0x0
	s_or_b32 exec_lo, exec_lo, s1
	global_load_b64 v[0:1], v[6:7], off offset:16
	s_wait_loadcnt 0x0
	v_mul_u64_e32 v[0:1], v[0:1], v[8:9]
	global_store_b128 v[4:5], v[0:3], off
.LBB22_8:
	s_endpgm
	.section	.rodata,"a",@progbits
	.p2align	6, 0x0
	.amdhsa_kernel _Z17testOperationsGPUI15HIP_vector_typeIxLj3EES0_IxLj1EEEvPT_S4_i
		.amdhsa_group_segment_fixed_size 0
		.amdhsa_private_segment_fixed_size 0
		.amdhsa_kernarg_size 20
		.amdhsa_user_sgpr_count 2
		.amdhsa_user_sgpr_dispatch_ptr 0
		.amdhsa_user_sgpr_queue_ptr 0
		.amdhsa_user_sgpr_kernarg_segment_ptr 1
		.amdhsa_user_sgpr_dispatch_id 0
		.amdhsa_user_sgpr_kernarg_preload_length 0
		.amdhsa_user_sgpr_kernarg_preload_offset 0
		.amdhsa_user_sgpr_private_segment_size 0
		.amdhsa_wavefront_size32 1
		.amdhsa_uses_dynamic_stack 0
		.amdhsa_enable_private_segment 0
		.amdhsa_system_sgpr_workgroup_id_x 1
		.amdhsa_system_sgpr_workgroup_id_y 0
		.amdhsa_system_sgpr_workgroup_id_z 0
		.amdhsa_system_sgpr_workgroup_info 0
		.amdhsa_system_vgpr_workitem_id 0
		.amdhsa_next_free_vgpr 30
		.amdhsa_next_free_sgpr 4
		.amdhsa_named_barrier_count 0
		.amdhsa_reserve_vcc 1
		.amdhsa_float_round_mode_32 0
		.amdhsa_float_round_mode_16_64 0
		.amdhsa_float_denorm_mode_32 3
		.amdhsa_float_denorm_mode_16_64 3
		.amdhsa_fp16_overflow 0
		.amdhsa_memory_ordered 1
		.amdhsa_forward_progress 1
		.amdhsa_inst_pref_size 9
		.amdhsa_round_robin_scheduling 0
		.amdhsa_exception_fp_ieee_invalid_op 0
		.amdhsa_exception_fp_denorm_src 0
		.amdhsa_exception_fp_ieee_div_zero 0
		.amdhsa_exception_fp_ieee_overflow 0
		.amdhsa_exception_fp_ieee_underflow 0
		.amdhsa_exception_fp_ieee_inexact 0
		.amdhsa_exception_int_div_zero 0
	.end_amdhsa_kernel
	.section	.text._Z17testOperationsGPUI15HIP_vector_typeIxLj3EES0_IxLj1EEEvPT_S4_i,"axG",@progbits,_Z17testOperationsGPUI15HIP_vector_typeIxLj3EES0_IxLj1EEEvPT_S4_i,comdat
.Lfunc_end22:
	.size	_Z17testOperationsGPUI15HIP_vector_typeIxLj3EES0_IxLj1EEEvPT_S4_i, .Lfunc_end22-_Z17testOperationsGPUI15HIP_vector_typeIxLj3EES0_IxLj1EEEvPT_S4_i
                                        ; -- End function
	.set _Z17testOperationsGPUI15HIP_vector_typeIxLj3EES0_IxLj1EEEvPT_S4_i.num_vgpr, 30
	.set _Z17testOperationsGPUI15HIP_vector_typeIxLj3EES0_IxLj1EEEvPT_S4_i.num_agpr, 0
	.set _Z17testOperationsGPUI15HIP_vector_typeIxLj3EES0_IxLj1EEEvPT_S4_i.numbered_sgpr, 4
	.set _Z17testOperationsGPUI15HIP_vector_typeIxLj3EES0_IxLj1EEEvPT_S4_i.num_named_barrier, 0
	.set _Z17testOperationsGPUI15HIP_vector_typeIxLj3EES0_IxLj1EEEvPT_S4_i.private_seg_size, 0
	.set _Z17testOperationsGPUI15HIP_vector_typeIxLj3EES0_IxLj1EEEvPT_S4_i.uses_vcc, 1
	.set _Z17testOperationsGPUI15HIP_vector_typeIxLj3EES0_IxLj1EEEvPT_S4_i.uses_flat_scratch, 0
	.set _Z17testOperationsGPUI15HIP_vector_typeIxLj3EES0_IxLj1EEEvPT_S4_i.has_dyn_sized_stack, 0
	.set _Z17testOperationsGPUI15HIP_vector_typeIxLj3EES0_IxLj1EEEvPT_S4_i.has_recursion, 0
	.set _Z17testOperationsGPUI15HIP_vector_typeIxLj3EES0_IxLj1EEEvPT_S4_i.has_indirect_call, 0
	.section	.AMDGPU.csdata,"",@progbits
; Kernel info:
; codeLenInByte = 1136
; TotalNumSgprs: 6
; NumVgprs: 30
; ScratchSize: 0
; MemoryBound: 0
; FloatMode: 240
; IeeeMode: 1
; LDSByteSize: 0 bytes/workgroup (compile time only)
; SGPRBlocks: 0
; VGPRBlocks: 1
; NumSGPRsForWavesPerEU: 6
; NumVGPRsForWavesPerEU: 30
; NamedBarCnt: 0
; Occupancy: 16
; WaveLimiterHint : 0
; COMPUTE_PGM_RSRC2:SCRATCH_EN: 0
; COMPUTE_PGM_RSRC2:USER_SGPR: 2
; COMPUTE_PGM_RSRC2:TRAP_HANDLER: 0
; COMPUTE_PGM_RSRC2:TGID_X_EN: 1
; COMPUTE_PGM_RSRC2:TGID_Y_EN: 0
; COMPUTE_PGM_RSRC2:TGID_Z_EN: 0
; COMPUTE_PGM_RSRC2:TIDIG_COMP_CNT: 0
	.section	.text._Z17testOperationsGPUI15HIP_vector_typeIxLj4EES0_IxLj1EEEvPT_S4_i,"axG",@progbits,_Z17testOperationsGPUI15HIP_vector_typeIxLj4EES0_IxLj1EEEvPT_S4_i,comdat
	.protected	_Z17testOperationsGPUI15HIP_vector_typeIxLj4EES0_IxLj1EEEvPT_S4_i ; -- Begin function _Z17testOperationsGPUI15HIP_vector_typeIxLj4EES0_IxLj1EEEvPT_S4_i
	.globl	_Z17testOperationsGPUI15HIP_vector_typeIxLj4EES0_IxLj1EEEvPT_S4_i
	.p2align	8
	.type	_Z17testOperationsGPUI15HIP_vector_typeIxLj4EES0_IxLj1EEEvPT_S4_i,@function
_Z17testOperationsGPUI15HIP_vector_typeIxLj4EES0_IxLj1EEEvPT_S4_i: ; @_Z17testOperationsGPUI15HIP_vector_typeIxLj4EES0_IxLj1EEEvPT_S4_i
; %bb.0:
	s_load_b32 s2, s[0:1], 0x10
	s_wait_kmcnt 0x0
	v_cmp_ge_i32_e32 vcc_lo, s2, v0
	s_and_saveexec_b32 s2, vcc_lo
	s_cbranch_execz .LBB23_8
; %bb.1:
	s_load_b128 s[0:3], s[0:1], 0x0
	v_dual_mov_b32 v1, 0 :: v_dual_lshlrev_b32 v0, 5, v0
	s_wait_kmcnt 0x0
	s_clause 0x1
	global_load_b64 v[2:3], v0, s[2:3]
	global_load_b64 v[4:5], v0, s[0:1]
	v_add_nc_u64_e32 v[6:7], s[2:3], v[0:1]
	s_wait_loadcnt 0x0
	v_add_nc_u64_e32 v[2:3], v[2:3], v[4:5]
	v_add_nc_u64_e32 v[4:5], s[0:1], v[0:1]
	s_delay_alu instid0(VALU_DEP_2)
	v_add_nc_u64_e32 v[2:3], 1, v[2:3]
	s_clause 0x1
	global_store_b64 v0, v[2:3], s[0:1]
	global_load_b64 v[2:3], v0, s[2:3]
	s_wait_loadcnt 0x0
	v_add_nc_u64_e32 v[10:11], 1, v[2:3]
	s_clause 0x2
	global_store_b64 v0, v[10:11], s[0:1] offset:8
	global_load_b64 v[8:9], v0, s[2:3] offset:8
	global_store_b64 v0, v[10:11], s[2:3]
	s_wait_loadcnt 0x0
	global_store_b64 v0, v[8:9], s[0:1]
	s_wait_xcnt 0x0
	s_mov_b32 s1, exec_lo
	v_cmpx_lt_i64_e32 0, v[8:9]
	s_cbranch_execz .LBB23_7
; %bb.2:
	global_load_b64 v[10:11], v[6:7], off
	s_mov_b32 s0, exec_lo
	v_mov_b32_e32 v12, v1
                                        ; implicit-def: $vgpr0_vgpr1
	s_wait_loadcnt 0x0
	v_or_b32_e32 v13, v11, v9
	s_wait_xcnt 0x0
	s_delay_alu instid0(VALU_DEP_1)
	v_cmpx_ne_u64_e32 0, v[12:13]
	s_xor_b32 s2, exec_lo, s0
	s_cbranch_execz .LBB23_4
; %bb.3:
	v_ashrrev_i32_e32 v0, 31, v9
	s_delay_alu instid0(VALU_DEP_1) | instskip(NEXT) | instid1(VALU_DEP_1)
	v_mov_b32_e32 v1, v0
	v_add_nc_u64_e32 v[8:9], v[8:9], v[0:1]
	s_delay_alu instid0(VALU_DEP_1) | instskip(NEXT) | instid1(VALU_DEP_2)
	v_xor_b32_e32 v8, v8, v0
	v_xor_b32_e32 v9, v9, v0
	s_delay_alu instid0(VALU_DEP_2) | instskip(NEXT) | instid1(VALU_DEP_2)
	v_cvt_f32_u32_e32 v1, v8
	v_cvt_f32_u32_e32 v12, v9
	s_delay_alu instid0(VALU_DEP_1) | instskip(NEXT) | instid1(VALU_DEP_1)
	v_fmamk_f32 v1, v12, 0x4f800000, v1
	v_rcp_f32_e32 v1, v1
	v_nop
	s_delay_alu instid0(TRANS32_DEP_1) | instskip(NEXT) | instid1(VALU_DEP_1)
	v_mul_f32_e32 v1, 0x5f7ffffc, v1
	v_mul_f32_e32 v12, 0x2f800000, v1
	s_delay_alu instid0(VALU_DEP_1) | instskip(NEXT) | instid1(VALU_DEP_1)
	v_trunc_f32_e32 v13, v12
	v_fmamk_f32 v1, v13, 0xcf800000, v1
	v_cvt_u32_f32_e32 v17, v13
	v_mov_b32_e32 v13, 0
	v_sub_nc_u64_e32 v[14:15], 0, v[8:9]
	s_delay_alu instid0(VALU_DEP_4) | instskip(NEXT) | instid1(VALU_DEP_3)
	v_cvt_u32_f32_e32 v12, v1
	v_dual_mov_b32 v22, v17 :: v_dual_mov_b32 v23, v13
	s_delay_alu instid0(VALU_DEP_2) | instskip(NEXT) | instid1(VALU_DEP_1)
	v_dual_mov_b32 v21, v13 :: v_dual_mov_b32 v16, v12
	v_mul_u64_e32 v[18:19], v[14:15], v[16:17]
	s_delay_alu instid0(VALU_DEP_1) | instskip(NEXT) | instid1(VALU_DEP_1)
	v_dual_mov_b32 v20, v19 :: v_dual_mov_b32 v19, v13
	v_mul_u64_e32 v[24:25], v[12:13], v[20:21]
	s_delay_alu instid0(VALU_DEP_2) | instskip(SKIP_2) | instid1(VALU_DEP_1)
	v_mul_u64_e32 v[26:27], v[22:23], v[18:19]
	v_mul_u64_e32 v[20:21], v[22:23], v[20:21]
	v_mul_hi_u32 v18, v12, v18
	v_add_nc_u64_e32 v[18:19], v[18:19], v[24:25]
	v_ashrrev_i32_e32 v24, 31, v11
	s_delay_alu instid0(VALU_DEP_1) | instskip(NEXT) | instid1(VALU_DEP_3)
	v_mov_b32_e32 v25, v24
	v_add_co_u32 v1, vcc_lo, v18, v26
	s_delay_alu instid0(VALU_DEP_4) | instskip(SKIP_1) | instid1(VALU_DEP_4)
	v_add_co_ci_u32_e32 v22, vcc_lo, v19, v27, vcc_lo
	v_add_co_ci_u32_e32 v21, vcc_lo, 0, v21, vcc_lo
	v_add_nc_u64_e32 v[10:11], v[10:11], v[24:25]
	v_xor_b32_e32 v0, v24, v0
	s_delay_alu instid0(VALU_DEP_3) | instskip(NEXT) | instid1(VALU_DEP_1)
	v_add_nc_u64_e32 v[18:19], v[22:23], v[20:21]
	v_add_co_u32 v16, vcc_lo, v12, v18
	s_delay_alu instid0(VALU_DEP_1) | instskip(NEXT) | instid1(VALU_DEP_1)
	v_add_co_ci_u32_e64 v12, null, v17, v19, vcc_lo
	v_dual_mov_b32 v19, v13 :: v_dual_mov_b32 v17, v12
	s_delay_alu instid0(VALU_DEP_1) | instskip(NEXT) | instid1(VALU_DEP_1)
	v_mul_u64_e32 v[14:15], v[14:15], v[16:17]
	v_dual_mov_b32 v17, v13 :: v_dual_mov_b32 v18, v15
	s_delay_alu instid0(VALU_DEP_2) | instskip(SKIP_2) | instid1(VALU_DEP_4)
	v_mov_b32_e32 v22, v14
	v_mul_hi_u32 v14, v16, v14
	v_mov_b32_e32 v15, v13
	v_mul_u64_e32 v[20:21], v[16:17], v[18:19]
	s_delay_alu instid0(VALU_DEP_4) | instskip(SKIP_1) | instid1(VALU_DEP_3)
	v_mul_u64_e32 v[22:23], v[12:13], v[22:23]
	v_mul_u64_e32 v[18:19], v[12:13], v[18:19]
	v_add_nc_u64_e32 v[14:15], v[14:15], v[20:21]
	v_mov_b32_e32 v21, v13
	s_delay_alu instid0(VALU_DEP_2) | instskip(NEXT) | instid1(VALU_DEP_3)
	v_add_co_u32 v1, vcc_lo, v14, v22
	v_add_co_ci_u32_e32 v20, vcc_lo, v15, v23, vcc_lo
	v_add_co_ci_u32_e32 v19, vcc_lo, 0, v19, vcc_lo
	s_delay_alu instid0(VALU_DEP_1) | instskip(SKIP_1) | instid1(VALU_DEP_2)
	v_add_nc_u64_e32 v[14:15], v[20:21], v[18:19]
	v_dual_mov_b32 v19, v13 :: v_dual_bitop2_b32 v18, v10, v24 bitop3:0x14
	v_add_co_u32 v14, vcc_lo, v16, v14
	s_delay_alu instid0(VALU_DEP_1) | instskip(SKIP_1) | instid1(VALU_DEP_2)
	v_add_co_ci_u32_e64 v12, null, v12, v15, vcc_lo
	v_dual_mov_b32 v15, v13 :: v_dual_bitop2_b32 v16, v11, v24 bitop3:0x14
	v_mul_u64_e32 v[20:21], v[18:19], v[12:13]
	s_delay_alu instid0(VALU_DEP_2) | instskip(SKIP_2) | instid1(VALU_DEP_1)
	v_mul_u64_e32 v[10:11], v[16:17], v[14:15]
	v_mul_u64_e32 v[22:23], v[16:17], v[12:13]
	v_mul_hi_u32 v14, v18, v14
	v_add_nc_u64_e32 v[14:15], v[14:15], v[20:21]
	s_delay_alu instid0(VALU_DEP_1) | instskip(NEXT) | instid1(VALU_DEP_2)
	v_add_co_u32 v1, vcc_lo, v14, v10
	v_add_co_ci_u32_e32 v12, vcc_lo, v15, v11, vcc_lo
	v_add_co_ci_u32_e32 v23, vcc_lo, 0, v23, vcc_lo
	s_delay_alu instid0(VALU_DEP_1) | instskip(NEXT) | instid1(VALU_DEP_1)
	v_add_nc_u64_e32 v[10:11], v[12:13], v[22:23]
	v_mul_u64_e32 v[12:13], v[8:9], v[10:11]
	s_delay_alu instid0(VALU_DEP_1) | instskip(NEXT) | instid1(VALU_DEP_2)
	v_sub_nc_u32_e32 v1, v16, v13
	v_sub_co_u32 v12, vcc_lo, v18, v12
	s_delay_alu instid0(VALU_DEP_1) | instskip(NEXT) | instid1(VALU_DEP_3)
	v_sub_co_ci_u32_e64 v16, null, v16, v13, vcc_lo
	v_sub_co_ci_u32_e64 v1, null, v1, v9, vcc_lo
	s_delay_alu instid0(VALU_DEP_3) | instskip(NEXT) | instid1(VALU_DEP_1)
	v_sub_co_u32 v14, s0, v12, v8
	v_subrev_co_ci_u32_e64 v1, null, 0, v1, s0
	s_delay_alu instid0(VALU_DEP_2) | instskip(SKIP_1) | instid1(VALU_DEP_3)
	v_cmp_ge_u32_e32 vcc_lo, v14, v8
	v_cndmask_b32_e64 v13, 0, -1, vcc_lo
	v_cmp_ge_u32_e32 vcc_lo, v1, v9
	v_cndmask_b32_e64 v14, 0, -1, vcc_lo
	;; [unrolled: 2-line block ×4, first 2 shown]
	v_cmp_eq_u32_e32 vcc_lo, v1, v9
	v_cndmask_b32_e32 v1, v14, v13, vcc_lo
	v_cmp_eq_u32_e32 vcc_lo, v16, v9
	v_add_nc_u64_e32 v[12:13], 2, v[10:11]
	v_add_nc_u64_e32 v[14:15], 1, v[10:11]
	v_cndmask_b32_e32 v8, v17, v8, vcc_lo
	v_cmp_ne_u32_e32 vcc_lo, 0, v1
	s_delay_alu instid0(VALU_DEP_2) | instskip(NEXT) | instid1(VALU_DEP_4)
	v_cmp_ne_u32_e64 s0, 0, v8
	v_dual_cndmask_b32 v1, v15, v13 :: v_dual_cndmask_b32 v8, v14, v12
	s_delay_alu instid0(VALU_DEP_1) | instskip(SKIP_1) | instid1(VALU_DEP_2)
	v_dual_cndmask_b32 v9, v11, v1, s0 :: v_dual_cndmask_b32 v8, v10, v8, s0
	v_mov_b32_e32 v1, v0
                                        ; implicit-def: $vgpr10_vgpr11
	v_xor_b32_e32 v9, v9, v0
	s_delay_alu instid0(VALU_DEP_3) | instskip(NEXT) | instid1(VALU_DEP_1)
	v_xor_b32_e32 v8, v8, v0
	v_sub_nc_u64_e32 v[0:1], v[8:9], v[0:1]
                                        ; implicit-def: $vgpr8_vgpr9
.LBB23_4:
	s_and_not1_saveexec_b32 s0, s2
	s_cbranch_execz .LBB23_6
; %bb.5:
	v_cvt_f32_u32_e32 v0, v8
	v_sub_nc_u32_e32 v1, 0, v8
	s_delay_alu instid0(VALU_DEP_2) | instskip(SKIP_1) | instid1(TRANS32_DEP_1)
	v_rcp_iflag_f32_e32 v0, v0
	v_nop
	v_mul_f32_e32 v0, 0x4f7ffffe, v0
	s_delay_alu instid0(VALU_DEP_1) | instskip(NEXT) | instid1(VALU_DEP_1)
	v_cvt_u32_f32_e32 v0, v0
	v_mul_lo_u32 v1, v1, v0
	s_delay_alu instid0(VALU_DEP_1) | instskip(NEXT) | instid1(VALU_DEP_1)
	v_mul_hi_u32 v1, v0, v1
	v_add_nc_u32_e32 v0, v0, v1
	s_delay_alu instid0(VALU_DEP_1) | instskip(NEXT) | instid1(VALU_DEP_1)
	v_mul_hi_u32 v0, v10, v0
	v_mul_lo_u32 v1, v0, v8
	s_delay_alu instid0(VALU_DEP_1) | instskip(NEXT) | instid1(VALU_DEP_1)
	v_sub_nc_u32_e32 v1, v10, v1
	v_sub_nc_u32_e32 v10, v1, v8
	v_cmp_ge_u32_e32 vcc_lo, v1, v8
	s_delay_alu instid0(VALU_DEP_2) | instskip(NEXT) | instid1(VALU_DEP_1)
	v_dual_add_nc_u32 v9, 1, v0 :: v_dual_cndmask_b32 v1, v1, v10, vcc_lo
	v_cndmask_b32_e32 v0, v0, v9, vcc_lo
	s_delay_alu instid0(VALU_DEP_2) | instskip(NEXT) | instid1(VALU_DEP_2)
	v_cmp_ge_u32_e32 vcc_lo, v1, v8
	v_dual_add_nc_u32 v9, 1, v0 :: v_dual_mov_b32 v1, 0
	s_delay_alu instid0(VALU_DEP_1)
	v_cndmask_b32_e32 v0, v0, v9, vcc_lo
.LBB23_6:
	s_or_b32 exec_lo, exec_lo, s0
	global_store_b64 v[6:7], v[0:1], off
	global_load_b64 v[8:9], v[4:5], off
.LBB23_7:
	s_wait_xcnt 0x0
	s_or_b32 exec_lo, exec_lo, s1
	global_load_b64 v[0:1], v[6:7], off offset:16
	s_wait_loadcnt 0x0
	v_mul_u64_e32 v[0:1], v[0:1], v[8:9]
	global_store_b128 v[4:5], v[0:3], off
	s_clause 0x1
	global_store_b64 v[6:7], v[0:1], off offset:24
	global_load_b64 v[0:1], v[6:7], off offset:8
	global_load_b64 v[2:3], v[4:5], off offset:24
	s_wait_loadcnt 0x0
	v_sub_nc_u64_e32 v[0:1], v[2:3], v[0:1]
	global_store_b64 v[4:5], v[0:1], off offset:24
.LBB23_8:
	s_endpgm
	.section	.rodata,"a",@progbits
	.p2align	6, 0x0
	.amdhsa_kernel _Z17testOperationsGPUI15HIP_vector_typeIxLj4EES0_IxLj1EEEvPT_S4_i
		.amdhsa_group_segment_fixed_size 0
		.amdhsa_private_segment_fixed_size 0
		.amdhsa_kernarg_size 20
		.amdhsa_user_sgpr_count 2
		.amdhsa_user_sgpr_dispatch_ptr 0
		.amdhsa_user_sgpr_queue_ptr 0
		.amdhsa_user_sgpr_kernarg_segment_ptr 1
		.amdhsa_user_sgpr_dispatch_id 0
		.amdhsa_user_sgpr_kernarg_preload_length 0
		.amdhsa_user_sgpr_kernarg_preload_offset 0
		.amdhsa_user_sgpr_private_segment_size 0
		.amdhsa_wavefront_size32 1
		.amdhsa_uses_dynamic_stack 0
		.amdhsa_enable_private_segment 0
		.amdhsa_system_sgpr_workgroup_id_x 1
		.amdhsa_system_sgpr_workgroup_id_y 0
		.amdhsa_system_sgpr_workgroup_id_z 0
		.amdhsa_system_sgpr_workgroup_info 0
		.amdhsa_system_vgpr_workitem_id 0
		.amdhsa_next_free_vgpr 28
		.amdhsa_next_free_sgpr 4
		.amdhsa_named_barrier_count 0
		.amdhsa_reserve_vcc 1
		.amdhsa_float_round_mode_32 0
		.amdhsa_float_round_mode_16_64 0
		.amdhsa_float_denorm_mode_32 3
		.amdhsa_float_denorm_mode_16_64 3
		.amdhsa_fp16_overflow 0
		.amdhsa_memory_ordered 1
		.amdhsa_forward_progress 1
		.amdhsa_inst_pref_size 10
		.amdhsa_round_robin_scheduling 0
		.amdhsa_exception_fp_ieee_invalid_op 0
		.amdhsa_exception_fp_denorm_src 0
		.amdhsa_exception_fp_ieee_div_zero 0
		.amdhsa_exception_fp_ieee_overflow 0
		.amdhsa_exception_fp_ieee_underflow 0
		.amdhsa_exception_fp_ieee_inexact 0
		.amdhsa_exception_int_div_zero 0
	.end_amdhsa_kernel
	.section	.text._Z17testOperationsGPUI15HIP_vector_typeIxLj4EES0_IxLj1EEEvPT_S4_i,"axG",@progbits,_Z17testOperationsGPUI15HIP_vector_typeIxLj4EES0_IxLj1EEEvPT_S4_i,comdat
.Lfunc_end23:
	.size	_Z17testOperationsGPUI15HIP_vector_typeIxLj4EES0_IxLj1EEEvPT_S4_i, .Lfunc_end23-_Z17testOperationsGPUI15HIP_vector_typeIxLj4EES0_IxLj1EEEvPT_S4_i
                                        ; -- End function
	.set _Z17testOperationsGPUI15HIP_vector_typeIxLj4EES0_IxLj1EEEvPT_S4_i.num_vgpr, 28
	.set _Z17testOperationsGPUI15HIP_vector_typeIxLj4EES0_IxLj1EEEvPT_S4_i.num_agpr, 0
	.set _Z17testOperationsGPUI15HIP_vector_typeIxLj4EES0_IxLj1EEEvPT_S4_i.numbered_sgpr, 4
	.set _Z17testOperationsGPUI15HIP_vector_typeIxLj4EES0_IxLj1EEEvPT_S4_i.num_named_barrier, 0
	.set _Z17testOperationsGPUI15HIP_vector_typeIxLj4EES0_IxLj1EEEvPT_S4_i.private_seg_size, 0
	.set _Z17testOperationsGPUI15HIP_vector_typeIxLj4EES0_IxLj1EEEvPT_S4_i.uses_vcc, 1
	.set _Z17testOperationsGPUI15HIP_vector_typeIxLj4EES0_IxLj1EEEvPT_S4_i.uses_flat_scratch, 0
	.set _Z17testOperationsGPUI15HIP_vector_typeIxLj4EES0_IxLj1EEEvPT_S4_i.has_dyn_sized_stack, 0
	.set _Z17testOperationsGPUI15HIP_vector_typeIxLj4EES0_IxLj1EEEvPT_S4_i.has_recursion, 0
	.set _Z17testOperationsGPUI15HIP_vector_typeIxLj4EES0_IxLj1EEEvPT_S4_i.has_indirect_call, 0
	.section	.AMDGPU.csdata,"",@progbits
; Kernel info:
; codeLenInByte = 1180
; TotalNumSgprs: 6
; NumVgprs: 28
; ScratchSize: 0
; MemoryBound: 0
; FloatMode: 240
; IeeeMode: 1
; LDSByteSize: 0 bytes/workgroup (compile time only)
; SGPRBlocks: 0
; VGPRBlocks: 1
; NumSGPRsForWavesPerEU: 6
; NumVGPRsForWavesPerEU: 28
; NamedBarCnt: 0
; Occupancy: 16
; WaveLimiterHint : 0
; COMPUTE_PGM_RSRC2:SCRATCH_EN: 0
; COMPUTE_PGM_RSRC2:USER_SGPR: 2
; COMPUTE_PGM_RSRC2:TRAP_HANDLER: 0
; COMPUTE_PGM_RSRC2:TGID_X_EN: 1
; COMPUTE_PGM_RSRC2:TGID_Y_EN: 0
; COMPUTE_PGM_RSRC2:TGID_Z_EN: 0
; COMPUTE_PGM_RSRC2:TIDIG_COMP_CNT: 0
	.section	.text._Z17testOperationsGPUI15HIP_vector_typeIsLj1EES1_EvPT_S3_i,"axG",@progbits,_Z17testOperationsGPUI15HIP_vector_typeIsLj1EES1_EvPT_S3_i,comdat
	.protected	_Z17testOperationsGPUI15HIP_vector_typeIsLj1EES1_EvPT_S3_i ; -- Begin function _Z17testOperationsGPUI15HIP_vector_typeIsLj1EES1_EvPT_S3_i
	.globl	_Z17testOperationsGPUI15HIP_vector_typeIsLj1EES1_EvPT_S3_i
	.p2align	8
	.type	_Z17testOperationsGPUI15HIP_vector_typeIsLj1EES1_EvPT_S3_i,@function
_Z17testOperationsGPUI15HIP_vector_typeIsLj1EES1_EvPT_S3_i: ; @_Z17testOperationsGPUI15HIP_vector_typeIsLj1EES1_EvPT_S3_i
; %bb.0:
	s_load_b32 s2, s[0:1], 0x10
	s_wait_kmcnt 0x0
	v_cmp_ge_i32_e32 vcc_lo, s2, v0
	s_and_saveexec_b32 s2, vcc_lo
	s_cbranch_execz .LBB24_2
; %bb.1:
	s_load_b128 s[0:3], s[0:1], 0x0
	s_wait_kmcnt 0x0
	s_clause 0x1
	global_load_u16 v1, v0, s[2:3] scale_offset
	global_load_u16 v2, v0, s[0:1] scale_offset
	s_wait_loadcnt 0x0
	v_add_nc_u16 v1, v1, v2
	s_delay_alu instid0(VALU_DEP_1)
	v_add_nc_u16 v1, v1, 1
	s_clause 0x1
	global_store_b16 v0, v1, s[0:1] scale_offset
	global_load_u16 v1, v0, s[2:3] scale_offset
	s_wait_loadcnt 0x0
	v_add_nc_u16 v1, v1, 1
	global_store_b16 v0, v1, s[2:3] scale_offset
.LBB24_2:
	s_endpgm
	.section	.rodata,"a",@progbits
	.p2align	6, 0x0
	.amdhsa_kernel _Z17testOperationsGPUI15HIP_vector_typeIsLj1EES1_EvPT_S3_i
		.amdhsa_group_segment_fixed_size 0
		.amdhsa_private_segment_fixed_size 0
		.amdhsa_kernarg_size 20
		.amdhsa_user_sgpr_count 2
		.amdhsa_user_sgpr_dispatch_ptr 0
		.amdhsa_user_sgpr_queue_ptr 0
		.amdhsa_user_sgpr_kernarg_segment_ptr 1
		.amdhsa_user_sgpr_dispatch_id 0
		.amdhsa_user_sgpr_kernarg_preload_length 0
		.amdhsa_user_sgpr_kernarg_preload_offset 0
		.amdhsa_user_sgpr_private_segment_size 0
		.amdhsa_wavefront_size32 1
		.amdhsa_uses_dynamic_stack 0
		.amdhsa_enable_private_segment 0
		.amdhsa_system_sgpr_workgroup_id_x 1
		.amdhsa_system_sgpr_workgroup_id_y 0
		.amdhsa_system_sgpr_workgroup_id_z 0
		.amdhsa_system_sgpr_workgroup_info 0
		.amdhsa_system_vgpr_workitem_id 0
		.amdhsa_next_free_vgpr 3
		.amdhsa_next_free_sgpr 4
		.amdhsa_named_barrier_count 0
		.amdhsa_reserve_vcc 1
		.amdhsa_float_round_mode_32 0
		.amdhsa_float_round_mode_16_64 0
		.amdhsa_float_denorm_mode_32 3
		.amdhsa_float_denorm_mode_16_64 3
		.amdhsa_fp16_overflow 0
		.amdhsa_memory_ordered 1
		.amdhsa_forward_progress 1
		.amdhsa_inst_pref_size 2
		.amdhsa_round_robin_scheduling 0
		.amdhsa_exception_fp_ieee_invalid_op 0
		.amdhsa_exception_fp_denorm_src 0
		.amdhsa_exception_fp_ieee_div_zero 0
		.amdhsa_exception_fp_ieee_overflow 0
		.amdhsa_exception_fp_ieee_underflow 0
		.amdhsa_exception_fp_ieee_inexact 0
		.amdhsa_exception_int_div_zero 0
	.end_amdhsa_kernel
	.section	.text._Z17testOperationsGPUI15HIP_vector_typeIsLj1EES1_EvPT_S3_i,"axG",@progbits,_Z17testOperationsGPUI15HIP_vector_typeIsLj1EES1_EvPT_S3_i,comdat
.Lfunc_end24:
	.size	_Z17testOperationsGPUI15HIP_vector_typeIsLj1EES1_EvPT_S3_i, .Lfunc_end24-_Z17testOperationsGPUI15HIP_vector_typeIsLj1EES1_EvPT_S3_i
                                        ; -- End function
	.set _Z17testOperationsGPUI15HIP_vector_typeIsLj1EES1_EvPT_S3_i.num_vgpr, 3
	.set _Z17testOperationsGPUI15HIP_vector_typeIsLj1EES1_EvPT_S3_i.num_agpr, 0
	.set _Z17testOperationsGPUI15HIP_vector_typeIsLj1EES1_EvPT_S3_i.numbered_sgpr, 4
	.set _Z17testOperationsGPUI15HIP_vector_typeIsLj1EES1_EvPT_S3_i.num_named_barrier, 0
	.set _Z17testOperationsGPUI15HIP_vector_typeIsLj1EES1_EvPT_S3_i.private_seg_size, 0
	.set _Z17testOperationsGPUI15HIP_vector_typeIsLj1EES1_EvPT_S3_i.uses_vcc, 1
	.set _Z17testOperationsGPUI15HIP_vector_typeIsLj1EES1_EvPT_S3_i.uses_flat_scratch, 0
	.set _Z17testOperationsGPUI15HIP_vector_typeIsLj1EES1_EvPT_S3_i.has_dyn_sized_stack, 0
	.set _Z17testOperationsGPUI15HIP_vector_typeIsLj1EES1_EvPT_S3_i.has_recursion, 0
	.set _Z17testOperationsGPUI15HIP_vector_typeIsLj1EES1_EvPT_S3_i.has_indirect_call, 0
	.section	.AMDGPU.csdata,"",@progbits
; Kernel info:
; codeLenInByte = 144
; TotalNumSgprs: 6
; NumVgprs: 3
; ScratchSize: 0
; MemoryBound: 0
; FloatMode: 240
; IeeeMode: 1
; LDSByteSize: 0 bytes/workgroup (compile time only)
; SGPRBlocks: 0
; VGPRBlocks: 0
; NumSGPRsForWavesPerEU: 6
; NumVGPRsForWavesPerEU: 3
; NamedBarCnt: 0
; Occupancy: 16
; WaveLimiterHint : 0
; COMPUTE_PGM_RSRC2:SCRATCH_EN: 0
; COMPUTE_PGM_RSRC2:USER_SGPR: 2
; COMPUTE_PGM_RSRC2:TRAP_HANDLER: 0
; COMPUTE_PGM_RSRC2:TGID_X_EN: 1
; COMPUTE_PGM_RSRC2:TGID_Y_EN: 0
; COMPUTE_PGM_RSRC2:TGID_Z_EN: 0
; COMPUTE_PGM_RSRC2:TIDIG_COMP_CNT: 0
	.section	.text._Z17testOperationsGPUI15HIP_vector_typeIsLj2EES0_IsLj1EEEvPT_S4_i,"axG",@progbits,_Z17testOperationsGPUI15HIP_vector_typeIsLj2EES0_IsLj1EEEvPT_S4_i,comdat
	.protected	_Z17testOperationsGPUI15HIP_vector_typeIsLj2EES0_IsLj1EEEvPT_S4_i ; -- Begin function _Z17testOperationsGPUI15HIP_vector_typeIsLj2EES0_IsLj1EEEvPT_S4_i
	.globl	_Z17testOperationsGPUI15HIP_vector_typeIsLj2EES0_IsLj1EEEvPT_S4_i
	.p2align	8
	.type	_Z17testOperationsGPUI15HIP_vector_typeIsLj2EES0_IsLj1EEEvPT_S4_i,@function
_Z17testOperationsGPUI15HIP_vector_typeIsLj2EES0_IsLj1EEEvPT_S4_i: ; @_Z17testOperationsGPUI15HIP_vector_typeIsLj2EES0_IsLj1EEEvPT_S4_i
; %bb.0:
	s_load_b32 s2, s[0:1], 0x10
	s_wait_kmcnt 0x0
	v_cmp_ge_i32_e32 vcc_lo, s2, v0
	s_and_saveexec_b32 s2, vcc_lo
	s_cbranch_execz .LBB25_2
; %bb.1:
	s_load_b128 s[0:3], s[0:1], 0x0
	v_lshlrev_b32_e32 v0, 2, v0
	s_wait_kmcnt 0x0
	s_clause 0x1
	global_load_u16 v1, v0, s[2:3]
	global_load_u16 v2, v0, s[0:1]
	s_wait_loadcnt 0x0
	v_add_nc_u16 v1, v1, v2
	s_delay_alu instid0(VALU_DEP_1)
	v_add_nc_u16 v1, v1, 1
	s_clause 0x1
	global_store_b16 v0, v1, s[0:1]
	global_load_u16 v1, v0, s[2:3]
	s_wait_loadcnt 0x0
	v_add_nc_u16 v1, v1, 1
	s_clause 0x2
	global_store_b16 v0, v1, s[0:1] offset:2
	global_load_u16 v2, v0, s[2:3] offset:2
	global_store_b16 v0, v1, s[2:3]
	s_wait_loadcnt 0x0
	global_store_b16 v0, v2, s[0:1]
.LBB25_2:
	s_endpgm
	.section	.rodata,"a",@progbits
	.p2align	6, 0x0
	.amdhsa_kernel _Z17testOperationsGPUI15HIP_vector_typeIsLj2EES0_IsLj1EEEvPT_S4_i
		.amdhsa_group_segment_fixed_size 0
		.amdhsa_private_segment_fixed_size 0
		.amdhsa_kernarg_size 20
		.amdhsa_user_sgpr_count 2
		.amdhsa_user_sgpr_dispatch_ptr 0
		.amdhsa_user_sgpr_queue_ptr 0
		.amdhsa_user_sgpr_kernarg_segment_ptr 1
		.amdhsa_user_sgpr_dispatch_id 0
		.amdhsa_user_sgpr_kernarg_preload_length 0
		.amdhsa_user_sgpr_kernarg_preload_offset 0
		.amdhsa_user_sgpr_private_segment_size 0
		.amdhsa_wavefront_size32 1
		.amdhsa_uses_dynamic_stack 0
		.amdhsa_enable_private_segment 0
		.amdhsa_system_sgpr_workgroup_id_x 1
		.amdhsa_system_sgpr_workgroup_id_y 0
		.amdhsa_system_sgpr_workgroup_id_z 0
		.amdhsa_system_sgpr_workgroup_info 0
		.amdhsa_system_vgpr_workitem_id 0
		.amdhsa_next_free_vgpr 3
		.amdhsa_next_free_sgpr 4
		.amdhsa_named_barrier_count 0
		.amdhsa_reserve_vcc 1
		.amdhsa_float_round_mode_32 0
		.amdhsa_float_round_mode_16_64 0
		.amdhsa_float_denorm_mode_32 3
		.amdhsa_float_denorm_mode_16_64 3
		.amdhsa_fp16_overflow 0
		.amdhsa_memory_ordered 1
		.amdhsa_forward_progress 1
		.amdhsa_inst_pref_size 2
		.amdhsa_round_robin_scheduling 0
		.amdhsa_exception_fp_ieee_invalid_op 0
		.amdhsa_exception_fp_denorm_src 0
		.amdhsa_exception_fp_ieee_div_zero 0
		.amdhsa_exception_fp_ieee_overflow 0
		.amdhsa_exception_fp_ieee_underflow 0
		.amdhsa_exception_fp_ieee_inexact 0
		.amdhsa_exception_int_div_zero 0
	.end_amdhsa_kernel
	.section	.text._Z17testOperationsGPUI15HIP_vector_typeIsLj2EES0_IsLj1EEEvPT_S4_i,"axG",@progbits,_Z17testOperationsGPUI15HIP_vector_typeIsLj2EES0_IsLj1EEEvPT_S4_i,comdat
.Lfunc_end25:
	.size	_Z17testOperationsGPUI15HIP_vector_typeIsLj2EES0_IsLj1EEEvPT_S4_i, .Lfunc_end25-_Z17testOperationsGPUI15HIP_vector_typeIsLj2EES0_IsLj1EEEvPT_S4_i
                                        ; -- End function
	.set _Z17testOperationsGPUI15HIP_vector_typeIsLj2EES0_IsLj1EEEvPT_S4_i.num_vgpr, 3
	.set _Z17testOperationsGPUI15HIP_vector_typeIsLj2EES0_IsLj1EEEvPT_S4_i.num_agpr, 0
	.set _Z17testOperationsGPUI15HIP_vector_typeIsLj2EES0_IsLj1EEEvPT_S4_i.numbered_sgpr, 4
	.set _Z17testOperationsGPUI15HIP_vector_typeIsLj2EES0_IsLj1EEEvPT_S4_i.num_named_barrier, 0
	.set _Z17testOperationsGPUI15HIP_vector_typeIsLj2EES0_IsLj1EEEvPT_S4_i.private_seg_size, 0
	.set _Z17testOperationsGPUI15HIP_vector_typeIsLj2EES0_IsLj1EEEvPT_S4_i.uses_vcc, 1
	.set _Z17testOperationsGPUI15HIP_vector_typeIsLj2EES0_IsLj1EEEvPT_S4_i.uses_flat_scratch, 0
	.set _Z17testOperationsGPUI15HIP_vector_typeIsLj2EES0_IsLj1EEEvPT_S4_i.has_dyn_sized_stack, 0
	.set _Z17testOperationsGPUI15HIP_vector_typeIsLj2EES0_IsLj1EEEvPT_S4_i.has_recursion, 0
	.set _Z17testOperationsGPUI15HIP_vector_typeIsLj2EES0_IsLj1EEEvPT_S4_i.has_indirect_call, 0
	.section	.AMDGPU.csdata,"",@progbits
; Kernel info:
; codeLenInByte = 192
; TotalNumSgprs: 6
; NumVgprs: 3
; ScratchSize: 0
; MemoryBound: 0
; FloatMode: 240
; IeeeMode: 1
; LDSByteSize: 0 bytes/workgroup (compile time only)
; SGPRBlocks: 0
; VGPRBlocks: 0
; NumSGPRsForWavesPerEU: 6
; NumVGPRsForWavesPerEU: 3
; NamedBarCnt: 0
; Occupancy: 16
; WaveLimiterHint : 0
; COMPUTE_PGM_RSRC2:SCRATCH_EN: 0
; COMPUTE_PGM_RSRC2:USER_SGPR: 2
; COMPUTE_PGM_RSRC2:TRAP_HANDLER: 0
; COMPUTE_PGM_RSRC2:TGID_X_EN: 1
; COMPUTE_PGM_RSRC2:TGID_Y_EN: 0
; COMPUTE_PGM_RSRC2:TGID_Z_EN: 0
; COMPUTE_PGM_RSRC2:TIDIG_COMP_CNT: 0
	.section	.text._Z17testOperationsGPUI15HIP_vector_typeIsLj3EES0_IsLj1EEEvPT_S4_i,"axG",@progbits,_Z17testOperationsGPUI15HIP_vector_typeIsLj3EES0_IsLj1EEEvPT_S4_i,comdat
	.protected	_Z17testOperationsGPUI15HIP_vector_typeIsLj3EES0_IsLj1EEEvPT_S4_i ; -- Begin function _Z17testOperationsGPUI15HIP_vector_typeIsLj3EES0_IsLj1EEEvPT_S4_i
	.globl	_Z17testOperationsGPUI15HIP_vector_typeIsLj3EES0_IsLj1EEEvPT_S4_i
	.p2align	8
	.type	_Z17testOperationsGPUI15HIP_vector_typeIsLj3EES0_IsLj1EEEvPT_S4_i,@function
_Z17testOperationsGPUI15HIP_vector_typeIsLj3EES0_IsLj1EEEvPT_S4_i: ; @_Z17testOperationsGPUI15HIP_vector_typeIsLj3EES0_IsLj1EEEvPT_S4_i
; %bb.0:
	s_load_b32 s2, s[0:1], 0x10
	s_wait_kmcnt 0x0
	v_cmp_ge_i32_e32 vcc_lo, s2, v0
	s_and_saveexec_b32 s2, vcc_lo
	s_cbranch_execz .LBB26_4
; %bb.1:
	s_load_b128 s[0:3], s[0:1], 0x0
	s_wait_kmcnt 0x0
	v_mad_nc_u64_u32 v[2:3], v0, 6, s[2:3]
	v_mad_nc_u64_u32 v[0:1], v0, 6, s[0:1]
	s_mov_b32 s0, exec_lo
	global_load_u16 v4, v[2:3], off
	global_load_u16 v5, v[0:1], off
	s_wait_loadcnt 0x0
	v_add_nc_u16 v4, v4, v5
	s_delay_alu instid0(VALU_DEP_1)
	v_add_nc_u16 v4, v4, 1
	global_store_b16 v[0:1], v4, off
	global_load_u16 v4, v[2:3], off
	s_wait_loadcnt 0x0
	v_add_nc_u16 v6, v4, 1
	global_store_b16 v[0:1], v6, off offset:2
	s_clause 0x1
	global_load_u16 v5, v[2:3], off offset:2
	global_store_b16 v[2:3], v6, off
	s_wait_loadcnt 0x0
	global_store_b16 v[0:1], v5, off
	s_wait_xcnt 0x0
	v_cmpx_lt_i16_e32 0, v5
	s_cbranch_execz .LBB26_3
; %bb.2:
	global_load_i16 v6, v[2:3], off
	v_bfe_i32 v5, v5, 0, 16
	s_delay_alu instid0(VALU_DEP_1) | instskip(NEXT) | instid1(VALU_DEP_1)
	v_cvt_f32_i32_e32 v7, v5
	v_rcp_iflag_f32_e32 v8, v7
	s_wait_loadcnt 0x0
	v_cvt_f32_i32_e32 v9, v6
	s_delay_alu instid0(TRANS32_DEP_1) | instid1(VALU_DEP_1)
	v_dual_mul_f32 v8, v9, v8 :: v_dual_bitop2_b32 v5, v6, v5 bitop3:0x14
	s_delay_alu instid0(VALU_DEP_1) | instskip(NEXT) | instid1(VALU_DEP_1)
	v_trunc_f32_e32 v6, v8
	v_dual_ashrrev_i32 v5, 30, v5 :: v_dual_fma_f32 v8, -v6, v7, v9
	s_delay_alu instid0(VALU_DEP_1) | instskip(SKIP_1) | instid1(VALU_DEP_3)
	v_or_b32_e32 v5, 1, v5
	v_cvt_i32_f32_e32 v6, v6
	v_cmp_ge_f32_e64 vcc_lo, |v8|, |v7|
	s_delay_alu instid0(VALU_DEP_3) | instskip(NEXT) | instid1(VALU_DEP_1)
	v_cndmask_b32_e32 v5, 0, v5, vcc_lo
	v_add_nc_u32_e32 v5, v6, v5
	global_store_b16 v[2:3], v5, off
	global_load_u16 v5, v[0:1], off
.LBB26_3:
	s_wait_xcnt 0x0
	s_or_b32 exec_lo, exec_lo, s0
	global_load_u16 v2, v[2:3], off offset:4
	s_wait_loadcnt 0x0
	v_mul_lo_u16 v2, v2, v5
	s_delay_alu instid0(VALU_DEP_1)
	v_perm_b32 v2, v4, v2, 0x5040100
	global_store_b32 v[0:1], v2, off
.LBB26_4:
	s_endpgm
	.section	.rodata,"a",@progbits
	.p2align	6, 0x0
	.amdhsa_kernel _Z17testOperationsGPUI15HIP_vector_typeIsLj3EES0_IsLj1EEEvPT_S4_i
		.amdhsa_group_segment_fixed_size 0
		.amdhsa_private_segment_fixed_size 0
		.amdhsa_kernarg_size 20
		.amdhsa_user_sgpr_count 2
		.amdhsa_user_sgpr_dispatch_ptr 0
		.amdhsa_user_sgpr_queue_ptr 0
		.amdhsa_user_sgpr_kernarg_segment_ptr 1
		.amdhsa_user_sgpr_dispatch_id 0
		.amdhsa_user_sgpr_kernarg_preload_length 0
		.amdhsa_user_sgpr_kernarg_preload_offset 0
		.amdhsa_user_sgpr_private_segment_size 0
		.amdhsa_wavefront_size32 1
		.amdhsa_uses_dynamic_stack 0
		.amdhsa_enable_private_segment 0
		.amdhsa_system_sgpr_workgroup_id_x 1
		.amdhsa_system_sgpr_workgroup_id_y 0
		.amdhsa_system_sgpr_workgroup_id_z 0
		.amdhsa_system_sgpr_workgroup_info 0
		.amdhsa_system_vgpr_workitem_id 0
		.amdhsa_next_free_vgpr 10
		.amdhsa_next_free_sgpr 4
		.amdhsa_named_barrier_count 0
		.amdhsa_reserve_vcc 1
		.amdhsa_float_round_mode_32 0
		.amdhsa_float_round_mode_16_64 0
		.amdhsa_float_denorm_mode_32 3
		.amdhsa_float_denorm_mode_16_64 3
		.amdhsa_fp16_overflow 0
		.amdhsa_memory_ordered 1
		.amdhsa_forward_progress 1
		.amdhsa_inst_pref_size 4
		.amdhsa_round_robin_scheduling 0
		.amdhsa_exception_fp_ieee_invalid_op 0
		.amdhsa_exception_fp_denorm_src 0
		.amdhsa_exception_fp_ieee_div_zero 0
		.amdhsa_exception_fp_ieee_overflow 0
		.amdhsa_exception_fp_ieee_underflow 0
		.amdhsa_exception_fp_ieee_inexact 0
		.amdhsa_exception_int_div_zero 0
	.end_amdhsa_kernel
	.section	.text._Z17testOperationsGPUI15HIP_vector_typeIsLj3EES0_IsLj1EEEvPT_S4_i,"axG",@progbits,_Z17testOperationsGPUI15HIP_vector_typeIsLj3EES0_IsLj1EEEvPT_S4_i,comdat
.Lfunc_end26:
	.size	_Z17testOperationsGPUI15HIP_vector_typeIsLj3EES0_IsLj1EEEvPT_S4_i, .Lfunc_end26-_Z17testOperationsGPUI15HIP_vector_typeIsLj3EES0_IsLj1EEEvPT_S4_i
                                        ; -- End function
	.set _Z17testOperationsGPUI15HIP_vector_typeIsLj3EES0_IsLj1EEEvPT_S4_i.num_vgpr, 10
	.set _Z17testOperationsGPUI15HIP_vector_typeIsLj3EES0_IsLj1EEEvPT_S4_i.num_agpr, 0
	.set _Z17testOperationsGPUI15HIP_vector_typeIsLj3EES0_IsLj1EEEvPT_S4_i.numbered_sgpr, 4
	.set _Z17testOperationsGPUI15HIP_vector_typeIsLj3EES0_IsLj1EEEvPT_S4_i.num_named_barrier, 0
	.set _Z17testOperationsGPUI15HIP_vector_typeIsLj3EES0_IsLj1EEEvPT_S4_i.private_seg_size, 0
	.set _Z17testOperationsGPUI15HIP_vector_typeIsLj3EES0_IsLj1EEEvPT_S4_i.uses_vcc, 1
	.set _Z17testOperationsGPUI15HIP_vector_typeIsLj3EES0_IsLj1EEEvPT_S4_i.uses_flat_scratch, 0
	.set _Z17testOperationsGPUI15HIP_vector_typeIsLj3EES0_IsLj1EEEvPT_S4_i.has_dyn_sized_stack, 0
	.set _Z17testOperationsGPUI15HIP_vector_typeIsLj3EES0_IsLj1EEEvPT_S4_i.has_recursion, 0
	.set _Z17testOperationsGPUI15HIP_vector_typeIsLj3EES0_IsLj1EEEvPT_S4_i.has_indirect_call, 0
	.section	.AMDGPU.csdata,"",@progbits
; Kernel info:
; codeLenInByte = 404
; TotalNumSgprs: 6
; NumVgprs: 10
; ScratchSize: 0
; MemoryBound: 0
; FloatMode: 240
; IeeeMode: 1
; LDSByteSize: 0 bytes/workgroup (compile time only)
; SGPRBlocks: 0
; VGPRBlocks: 0
; NumSGPRsForWavesPerEU: 6
; NumVGPRsForWavesPerEU: 10
; NamedBarCnt: 0
; Occupancy: 16
; WaveLimiterHint : 0
; COMPUTE_PGM_RSRC2:SCRATCH_EN: 0
; COMPUTE_PGM_RSRC2:USER_SGPR: 2
; COMPUTE_PGM_RSRC2:TRAP_HANDLER: 0
; COMPUTE_PGM_RSRC2:TGID_X_EN: 1
; COMPUTE_PGM_RSRC2:TGID_Y_EN: 0
; COMPUTE_PGM_RSRC2:TGID_Z_EN: 0
; COMPUTE_PGM_RSRC2:TIDIG_COMP_CNT: 0
	.section	.text._Z17testOperationsGPUI15HIP_vector_typeIsLj4EES0_IsLj1EEEvPT_S4_i,"axG",@progbits,_Z17testOperationsGPUI15HIP_vector_typeIsLj4EES0_IsLj1EEEvPT_S4_i,comdat
	.protected	_Z17testOperationsGPUI15HIP_vector_typeIsLj4EES0_IsLj1EEEvPT_S4_i ; -- Begin function _Z17testOperationsGPUI15HIP_vector_typeIsLj4EES0_IsLj1EEEvPT_S4_i
	.globl	_Z17testOperationsGPUI15HIP_vector_typeIsLj4EES0_IsLj1EEEvPT_S4_i
	.p2align	8
	.type	_Z17testOperationsGPUI15HIP_vector_typeIsLj4EES0_IsLj1EEEvPT_S4_i,@function
_Z17testOperationsGPUI15HIP_vector_typeIsLj4EES0_IsLj1EEEvPT_S4_i: ; @_Z17testOperationsGPUI15HIP_vector_typeIsLj4EES0_IsLj1EEEvPT_S4_i
; %bb.0:
	s_load_b32 s2, s[0:1], 0x10
	s_wait_kmcnt 0x0
	v_cmp_ge_i32_e32 vcc_lo, s2, v0
	s_and_saveexec_b32 s2, vcc_lo
	s_cbranch_execz .LBB27_4
; %bb.1:
	s_load_b128 s[0:3], s[0:1], 0x0
	v_dual_mov_b32 v7, 0 :: v_dual_lshlrev_b32 v6, 3, v0
	s_wait_kmcnt 0x0
	s_clause 0x1
	global_load_u16 v0, v6, s[2:3]
	global_load_u16 v1, v6, s[0:1]
	v_add_nc_u64_e32 v[2:3], s[2:3], v[6:7]
	s_wait_loadcnt 0x0
	v_add_nc_u16 v0, v0, v1
	s_delay_alu instid0(VALU_DEP_1)
	v_add_nc_u16 v0, v0, 1
	s_clause 0x1
	global_store_b16 v6, v0, s[0:1]
	global_load_u16 v4, v6, s[2:3]
	s_wait_xcnt 0x1
	v_add_nc_u64_e32 v[0:1], s[0:1], v[6:7]
	s_wait_loadcnt 0x0
	v_add_nc_u16 v8, v4, 1
	s_clause 0x2
	global_store_b16 v6, v8, s[0:1] offset:2
	global_load_u16 v5, v6, s[2:3] offset:2
	global_store_b16 v6, v8, s[2:3]
	s_wait_loadcnt 0x0
	global_store_b16 v6, v5, s[0:1]
	s_wait_xcnt 0x0
	s_mov_b32 s0, exec_lo
	v_cmpx_lt_i16_e32 0, v5
	s_cbranch_execz .LBB27_3
; %bb.2:
	global_load_i16 v6, v[2:3], off
	v_bfe_i32 v5, v5, 0, 16
	s_delay_alu instid0(VALU_DEP_1) | instskip(NEXT) | instid1(VALU_DEP_1)
	v_cvt_f32_i32_e32 v7, v5
	v_rcp_iflag_f32_e32 v8, v7
	s_wait_loadcnt 0x0
	v_cvt_f32_i32_e32 v9, v6
	s_delay_alu instid0(TRANS32_DEP_1) | instid1(VALU_DEP_1)
	v_dual_mul_f32 v8, v9, v8 :: v_dual_bitop2_b32 v5, v6, v5 bitop3:0x14
	s_delay_alu instid0(VALU_DEP_1) | instskip(NEXT) | instid1(VALU_DEP_1)
	v_trunc_f32_e32 v6, v8
	v_dual_ashrrev_i32 v5, 30, v5 :: v_dual_fma_f32 v8, -v6, v7, v9
	s_delay_alu instid0(VALU_DEP_1) | instskip(SKIP_1) | instid1(VALU_DEP_3)
	v_or_b32_e32 v5, 1, v5
	v_cvt_i32_f32_e32 v6, v6
	v_cmp_ge_f32_e64 vcc_lo, |v8|, |v7|
	s_delay_alu instid0(VALU_DEP_3) | instskip(NEXT) | instid1(VALU_DEP_1)
	v_cndmask_b32_e32 v5, 0, v5, vcc_lo
	v_add_nc_u32_e32 v5, v6, v5
	global_store_b16 v[2:3], v5, off
	global_load_u16 v5, v[0:1], off
.LBB27_3:
	s_wait_xcnt 0x0
	s_or_b32 exec_lo, exec_lo, s0
	global_load_u16 v6, v[2:3], off offset:4
	s_wait_loadcnt 0x0
	v_mul_lo_u16 v5, v6, v5
	s_delay_alu instid0(VALU_DEP_1)
	v_perm_b32 v4, v4, v5, 0x5040100
	global_store_b32 v[0:1], v4, off
	s_clause 0x1
	global_store_b16 v[2:3], v5, off offset:6
	global_load_u16 v4, v[2:3], off offset:2
	global_load_u16 v5, v[0:1], off offset:6
	s_wait_loadcnt 0x0
	s_wait_xcnt 0x1
	v_sub_nc_u16 v2, v5, v4
	global_store_b16 v[0:1], v2, off offset:6
.LBB27_4:
	s_endpgm
	.section	.rodata,"a",@progbits
	.p2align	6, 0x0
	.amdhsa_kernel _Z17testOperationsGPUI15HIP_vector_typeIsLj4EES0_IsLj1EEEvPT_S4_i
		.amdhsa_group_segment_fixed_size 0
		.amdhsa_private_segment_fixed_size 0
		.amdhsa_kernarg_size 20
		.amdhsa_user_sgpr_count 2
		.amdhsa_user_sgpr_dispatch_ptr 0
		.amdhsa_user_sgpr_queue_ptr 0
		.amdhsa_user_sgpr_kernarg_segment_ptr 1
		.amdhsa_user_sgpr_dispatch_id 0
		.amdhsa_user_sgpr_kernarg_preload_length 0
		.amdhsa_user_sgpr_kernarg_preload_offset 0
		.amdhsa_user_sgpr_private_segment_size 0
		.amdhsa_wavefront_size32 1
		.amdhsa_uses_dynamic_stack 0
		.amdhsa_enable_private_segment 0
		.amdhsa_system_sgpr_workgroup_id_x 1
		.amdhsa_system_sgpr_workgroup_id_y 0
		.amdhsa_system_sgpr_workgroup_id_z 0
		.amdhsa_system_sgpr_workgroup_info 0
		.amdhsa_system_vgpr_workitem_id 0
		.amdhsa_next_free_vgpr 10
		.amdhsa_next_free_sgpr 4
		.amdhsa_named_barrier_count 0
		.amdhsa_reserve_vcc 1
		.amdhsa_float_round_mode_32 0
		.amdhsa_float_round_mode_16_64 0
		.amdhsa_float_denorm_mode_32 3
		.amdhsa_float_denorm_mode_16_64 3
		.amdhsa_fp16_overflow 0
		.amdhsa_memory_ordered 1
		.amdhsa_forward_progress 1
		.amdhsa_inst_pref_size 4
		.amdhsa_round_robin_scheduling 0
		.amdhsa_exception_fp_ieee_invalid_op 0
		.amdhsa_exception_fp_denorm_src 0
		.amdhsa_exception_fp_ieee_div_zero 0
		.amdhsa_exception_fp_ieee_overflow 0
		.amdhsa_exception_fp_ieee_underflow 0
		.amdhsa_exception_fp_ieee_inexact 0
		.amdhsa_exception_int_div_zero 0
	.end_amdhsa_kernel
	.section	.text._Z17testOperationsGPUI15HIP_vector_typeIsLj4EES0_IsLj1EEEvPT_S4_i,"axG",@progbits,_Z17testOperationsGPUI15HIP_vector_typeIsLj4EES0_IsLj1EEEvPT_S4_i,comdat
.Lfunc_end27:
	.size	_Z17testOperationsGPUI15HIP_vector_typeIsLj4EES0_IsLj1EEEvPT_S4_i, .Lfunc_end27-_Z17testOperationsGPUI15HIP_vector_typeIsLj4EES0_IsLj1EEEvPT_S4_i
                                        ; -- End function
	.set _Z17testOperationsGPUI15HIP_vector_typeIsLj4EES0_IsLj1EEEvPT_S4_i.num_vgpr, 10
	.set _Z17testOperationsGPUI15HIP_vector_typeIsLj4EES0_IsLj1EEEvPT_S4_i.num_agpr, 0
	.set _Z17testOperationsGPUI15HIP_vector_typeIsLj4EES0_IsLj1EEEvPT_S4_i.numbered_sgpr, 4
	.set _Z17testOperationsGPUI15HIP_vector_typeIsLj4EES0_IsLj1EEEvPT_S4_i.num_named_barrier, 0
	.set _Z17testOperationsGPUI15HIP_vector_typeIsLj4EES0_IsLj1EEEvPT_S4_i.private_seg_size, 0
	.set _Z17testOperationsGPUI15HIP_vector_typeIsLj4EES0_IsLj1EEEvPT_S4_i.uses_vcc, 1
	.set _Z17testOperationsGPUI15HIP_vector_typeIsLj4EES0_IsLj1EEEvPT_S4_i.uses_flat_scratch, 0
	.set _Z17testOperationsGPUI15HIP_vector_typeIsLj4EES0_IsLj1EEEvPT_S4_i.has_dyn_sized_stack, 0
	.set _Z17testOperationsGPUI15HIP_vector_typeIsLj4EES0_IsLj1EEEvPT_S4_i.has_recursion, 0
	.set _Z17testOperationsGPUI15HIP_vector_typeIsLj4EES0_IsLj1EEEvPT_S4_i.has_indirect_call, 0
	.section	.AMDGPU.csdata,"",@progbits
; Kernel info:
; codeLenInByte = 484
; TotalNumSgprs: 6
; NumVgprs: 10
; ScratchSize: 0
; MemoryBound: 0
; FloatMode: 240
; IeeeMode: 1
; LDSByteSize: 0 bytes/workgroup (compile time only)
; SGPRBlocks: 0
; VGPRBlocks: 0
; NumSGPRsForWavesPerEU: 6
; NumVGPRsForWavesPerEU: 10
; NamedBarCnt: 0
; Occupancy: 16
; WaveLimiterHint : 0
; COMPUTE_PGM_RSRC2:SCRATCH_EN: 0
; COMPUTE_PGM_RSRC2:USER_SGPR: 2
; COMPUTE_PGM_RSRC2:TRAP_HANDLER: 0
; COMPUTE_PGM_RSRC2:TGID_X_EN: 1
; COMPUTE_PGM_RSRC2:TGID_Y_EN: 0
; COMPUTE_PGM_RSRC2:TGID_Z_EN: 0
; COMPUTE_PGM_RSRC2:TIDIG_COMP_CNT: 0
	.section	.text._Z17testOperationsGPUI15HIP_vector_typeIjLj1EES1_EvPT_S3_i,"axG",@progbits,_Z17testOperationsGPUI15HIP_vector_typeIjLj1EES1_EvPT_S3_i,comdat
	.protected	_Z17testOperationsGPUI15HIP_vector_typeIjLj1EES1_EvPT_S3_i ; -- Begin function _Z17testOperationsGPUI15HIP_vector_typeIjLj1EES1_EvPT_S3_i
	.globl	_Z17testOperationsGPUI15HIP_vector_typeIjLj1EES1_EvPT_S3_i
	.p2align	8
	.type	_Z17testOperationsGPUI15HIP_vector_typeIjLj1EES1_EvPT_S3_i,@function
_Z17testOperationsGPUI15HIP_vector_typeIjLj1EES1_EvPT_S3_i: ; @_Z17testOperationsGPUI15HIP_vector_typeIjLj1EES1_EvPT_S3_i
; %bb.0:
	s_load_b32 s2, s[0:1], 0x10
	s_wait_kmcnt 0x0
	v_cmp_ge_i32_e32 vcc_lo, s2, v0
	s_and_saveexec_b32 s2, vcc_lo
	s_cbranch_execz .LBB28_2
; %bb.1:
	s_load_b128 s[0:3], s[0:1], 0x0
	s_wait_kmcnt 0x0
	s_clause 0x1
	global_load_b32 v1, v0, s[2:3] scale_offset
	global_load_b32 v2, v0, s[0:1] scale_offset
	s_wait_loadcnt 0x0
	v_add3_u32 v1, v1, v2, 1
	s_clause 0x1
	global_store_b32 v0, v1, s[0:1] scale_offset
	global_load_b32 v1, v0, s[2:3] scale_offset
	s_wait_loadcnt 0x0
	v_add_nc_u32_e32 v1, 1, v1
	global_store_b32 v0, v1, s[2:3] scale_offset
.LBB28_2:
	s_endpgm
	.section	.rodata,"a",@progbits
	.p2align	6, 0x0
	.amdhsa_kernel _Z17testOperationsGPUI15HIP_vector_typeIjLj1EES1_EvPT_S3_i
		.amdhsa_group_segment_fixed_size 0
		.amdhsa_private_segment_fixed_size 0
		.amdhsa_kernarg_size 20
		.amdhsa_user_sgpr_count 2
		.amdhsa_user_sgpr_dispatch_ptr 0
		.amdhsa_user_sgpr_queue_ptr 0
		.amdhsa_user_sgpr_kernarg_segment_ptr 1
		.amdhsa_user_sgpr_dispatch_id 0
		.amdhsa_user_sgpr_kernarg_preload_length 0
		.amdhsa_user_sgpr_kernarg_preload_offset 0
		.amdhsa_user_sgpr_private_segment_size 0
		.amdhsa_wavefront_size32 1
		.amdhsa_uses_dynamic_stack 0
		.amdhsa_enable_private_segment 0
		.amdhsa_system_sgpr_workgroup_id_x 1
		.amdhsa_system_sgpr_workgroup_id_y 0
		.amdhsa_system_sgpr_workgroup_id_z 0
		.amdhsa_system_sgpr_workgroup_info 0
		.amdhsa_system_vgpr_workitem_id 0
		.amdhsa_next_free_vgpr 3
		.amdhsa_next_free_sgpr 4
		.amdhsa_named_barrier_count 0
		.amdhsa_reserve_vcc 1
		.amdhsa_float_round_mode_32 0
		.amdhsa_float_round_mode_16_64 0
		.amdhsa_float_denorm_mode_32 3
		.amdhsa_float_denorm_mode_16_64 3
		.amdhsa_fp16_overflow 0
		.amdhsa_memory_ordered 1
		.amdhsa_forward_progress 1
		.amdhsa_inst_pref_size 1
		.amdhsa_round_robin_scheduling 0
		.amdhsa_exception_fp_ieee_invalid_op 0
		.amdhsa_exception_fp_denorm_src 0
		.amdhsa_exception_fp_ieee_div_zero 0
		.amdhsa_exception_fp_ieee_overflow 0
		.amdhsa_exception_fp_ieee_underflow 0
		.amdhsa_exception_fp_ieee_inexact 0
		.amdhsa_exception_int_div_zero 0
	.end_amdhsa_kernel
	.section	.text._Z17testOperationsGPUI15HIP_vector_typeIjLj1EES1_EvPT_S3_i,"axG",@progbits,_Z17testOperationsGPUI15HIP_vector_typeIjLj1EES1_EvPT_S3_i,comdat
.Lfunc_end28:
	.size	_Z17testOperationsGPUI15HIP_vector_typeIjLj1EES1_EvPT_S3_i, .Lfunc_end28-_Z17testOperationsGPUI15HIP_vector_typeIjLj1EES1_EvPT_S3_i
                                        ; -- End function
	.set _Z17testOperationsGPUI15HIP_vector_typeIjLj1EES1_EvPT_S3_i.num_vgpr, 3
	.set _Z17testOperationsGPUI15HIP_vector_typeIjLj1EES1_EvPT_S3_i.num_agpr, 0
	.set _Z17testOperationsGPUI15HIP_vector_typeIjLj1EES1_EvPT_S3_i.numbered_sgpr, 4
	.set _Z17testOperationsGPUI15HIP_vector_typeIjLj1EES1_EvPT_S3_i.num_named_barrier, 0
	.set _Z17testOperationsGPUI15HIP_vector_typeIjLj1EES1_EvPT_S3_i.private_seg_size, 0
	.set _Z17testOperationsGPUI15HIP_vector_typeIjLj1EES1_EvPT_S3_i.uses_vcc, 1
	.set _Z17testOperationsGPUI15HIP_vector_typeIjLj1EES1_EvPT_S3_i.uses_flat_scratch, 0
	.set _Z17testOperationsGPUI15HIP_vector_typeIjLj1EES1_EvPT_S3_i.has_dyn_sized_stack, 0
	.set _Z17testOperationsGPUI15HIP_vector_typeIjLj1EES1_EvPT_S3_i.has_recursion, 0
	.set _Z17testOperationsGPUI15HIP_vector_typeIjLj1EES1_EvPT_S3_i.has_indirect_call, 0
	.section	.AMDGPU.csdata,"",@progbits
; Kernel info:
; codeLenInByte = 128
; TotalNumSgprs: 6
; NumVgprs: 3
; ScratchSize: 0
; MemoryBound: 0
; FloatMode: 240
; IeeeMode: 1
; LDSByteSize: 0 bytes/workgroup (compile time only)
; SGPRBlocks: 0
; VGPRBlocks: 0
; NumSGPRsForWavesPerEU: 6
; NumVGPRsForWavesPerEU: 3
; NamedBarCnt: 0
; Occupancy: 16
; WaveLimiterHint : 0
; COMPUTE_PGM_RSRC2:SCRATCH_EN: 0
; COMPUTE_PGM_RSRC2:USER_SGPR: 2
; COMPUTE_PGM_RSRC2:TRAP_HANDLER: 0
; COMPUTE_PGM_RSRC2:TGID_X_EN: 1
; COMPUTE_PGM_RSRC2:TGID_Y_EN: 0
; COMPUTE_PGM_RSRC2:TGID_Z_EN: 0
; COMPUTE_PGM_RSRC2:TIDIG_COMP_CNT: 0
	.section	.text._Z17testOperationsGPUI15HIP_vector_typeIjLj2EES0_IjLj1EEEvPT_S4_i,"axG",@progbits,_Z17testOperationsGPUI15HIP_vector_typeIjLj2EES0_IjLj1EEEvPT_S4_i,comdat
	.protected	_Z17testOperationsGPUI15HIP_vector_typeIjLj2EES0_IjLj1EEEvPT_S4_i ; -- Begin function _Z17testOperationsGPUI15HIP_vector_typeIjLj2EES0_IjLj1EEEvPT_S4_i
	.globl	_Z17testOperationsGPUI15HIP_vector_typeIjLj2EES0_IjLj1EEEvPT_S4_i
	.p2align	8
	.type	_Z17testOperationsGPUI15HIP_vector_typeIjLj2EES0_IjLj1EEEvPT_S4_i,@function
_Z17testOperationsGPUI15HIP_vector_typeIjLj2EES0_IjLj1EEEvPT_S4_i: ; @_Z17testOperationsGPUI15HIP_vector_typeIjLj2EES0_IjLj1EEEvPT_S4_i
; %bb.0:
	s_load_b32 s2, s[0:1], 0x10
	s_wait_kmcnt 0x0
	v_cmp_ge_i32_e32 vcc_lo, s2, v0
	s_and_saveexec_b32 s2, vcc_lo
	s_cbranch_execz .LBB29_2
; %bb.1:
	s_load_b128 s[0:3], s[0:1], 0x0
	v_lshlrev_b32_e32 v0, 3, v0
	s_wait_kmcnt 0x0
	s_clause 0x1
	global_load_b32 v1, v0, s[2:3]
	global_load_b32 v2, v0, s[0:1]
	s_wait_loadcnt 0x0
	v_add3_u32 v1, v1, v2, 1
	s_clause 0x1
	global_store_b32 v0, v1, s[0:1]
	global_load_b32 v1, v0, s[2:3]
	s_wait_loadcnt 0x0
	v_add_nc_u32_e32 v1, 1, v1
	s_clause 0x2
	global_store_b32 v0, v1, s[0:1] offset:4
	global_load_b32 v2, v0, s[2:3] offset:4
	global_store_b32 v0, v1, s[2:3]
	s_wait_loadcnt 0x0
	global_store_b32 v0, v2, s[0:1]
.LBB29_2:
	s_endpgm
	.section	.rodata,"a",@progbits
	.p2align	6, 0x0
	.amdhsa_kernel _Z17testOperationsGPUI15HIP_vector_typeIjLj2EES0_IjLj1EEEvPT_S4_i
		.amdhsa_group_segment_fixed_size 0
		.amdhsa_private_segment_fixed_size 0
		.amdhsa_kernarg_size 20
		.amdhsa_user_sgpr_count 2
		.amdhsa_user_sgpr_dispatch_ptr 0
		.amdhsa_user_sgpr_queue_ptr 0
		.amdhsa_user_sgpr_kernarg_segment_ptr 1
		.amdhsa_user_sgpr_dispatch_id 0
		.amdhsa_user_sgpr_kernarg_preload_length 0
		.amdhsa_user_sgpr_kernarg_preload_offset 0
		.amdhsa_user_sgpr_private_segment_size 0
		.amdhsa_wavefront_size32 1
		.amdhsa_uses_dynamic_stack 0
		.amdhsa_enable_private_segment 0
		.amdhsa_system_sgpr_workgroup_id_x 1
		.amdhsa_system_sgpr_workgroup_id_y 0
		.amdhsa_system_sgpr_workgroup_id_z 0
		.amdhsa_system_sgpr_workgroup_info 0
		.amdhsa_system_vgpr_workitem_id 0
		.amdhsa_next_free_vgpr 3
		.amdhsa_next_free_sgpr 4
		.amdhsa_named_barrier_count 0
		.amdhsa_reserve_vcc 1
		.amdhsa_float_round_mode_32 0
		.amdhsa_float_round_mode_16_64 0
		.amdhsa_float_denorm_mode_32 3
		.amdhsa_float_denorm_mode_16_64 3
		.amdhsa_fp16_overflow 0
		.amdhsa_memory_ordered 1
		.amdhsa_forward_progress 1
		.amdhsa_inst_pref_size 2
		.amdhsa_round_robin_scheduling 0
		.amdhsa_exception_fp_ieee_invalid_op 0
		.amdhsa_exception_fp_denorm_src 0
		.amdhsa_exception_fp_ieee_div_zero 0
		.amdhsa_exception_fp_ieee_overflow 0
		.amdhsa_exception_fp_ieee_underflow 0
		.amdhsa_exception_fp_ieee_inexact 0
		.amdhsa_exception_int_div_zero 0
	.end_amdhsa_kernel
	.section	.text._Z17testOperationsGPUI15HIP_vector_typeIjLj2EES0_IjLj1EEEvPT_S4_i,"axG",@progbits,_Z17testOperationsGPUI15HIP_vector_typeIjLj2EES0_IjLj1EEEvPT_S4_i,comdat
.Lfunc_end29:
	.size	_Z17testOperationsGPUI15HIP_vector_typeIjLj2EES0_IjLj1EEEvPT_S4_i, .Lfunc_end29-_Z17testOperationsGPUI15HIP_vector_typeIjLj2EES0_IjLj1EEEvPT_S4_i
                                        ; -- End function
	.set _Z17testOperationsGPUI15HIP_vector_typeIjLj2EES0_IjLj1EEEvPT_S4_i.num_vgpr, 3
	.set _Z17testOperationsGPUI15HIP_vector_typeIjLj2EES0_IjLj1EEEvPT_S4_i.num_agpr, 0
	.set _Z17testOperationsGPUI15HIP_vector_typeIjLj2EES0_IjLj1EEEvPT_S4_i.numbered_sgpr, 4
	.set _Z17testOperationsGPUI15HIP_vector_typeIjLj2EES0_IjLj1EEEvPT_S4_i.num_named_barrier, 0
	.set _Z17testOperationsGPUI15HIP_vector_typeIjLj2EES0_IjLj1EEEvPT_S4_i.private_seg_size, 0
	.set _Z17testOperationsGPUI15HIP_vector_typeIjLj2EES0_IjLj1EEEvPT_S4_i.uses_vcc, 1
	.set _Z17testOperationsGPUI15HIP_vector_typeIjLj2EES0_IjLj1EEEvPT_S4_i.uses_flat_scratch, 0
	.set _Z17testOperationsGPUI15HIP_vector_typeIjLj2EES0_IjLj1EEEvPT_S4_i.has_dyn_sized_stack, 0
	.set _Z17testOperationsGPUI15HIP_vector_typeIjLj2EES0_IjLj1EEEvPT_S4_i.has_recursion, 0
	.set _Z17testOperationsGPUI15HIP_vector_typeIjLj2EES0_IjLj1EEEvPT_S4_i.has_indirect_call, 0
	.section	.AMDGPU.csdata,"",@progbits
; Kernel info:
; codeLenInByte = 176
; TotalNumSgprs: 6
; NumVgprs: 3
; ScratchSize: 0
; MemoryBound: 0
; FloatMode: 240
; IeeeMode: 1
; LDSByteSize: 0 bytes/workgroup (compile time only)
; SGPRBlocks: 0
; VGPRBlocks: 0
; NumSGPRsForWavesPerEU: 6
; NumVGPRsForWavesPerEU: 3
; NamedBarCnt: 0
; Occupancy: 16
; WaveLimiterHint : 0
; COMPUTE_PGM_RSRC2:SCRATCH_EN: 0
; COMPUTE_PGM_RSRC2:USER_SGPR: 2
; COMPUTE_PGM_RSRC2:TRAP_HANDLER: 0
; COMPUTE_PGM_RSRC2:TGID_X_EN: 1
; COMPUTE_PGM_RSRC2:TGID_Y_EN: 0
; COMPUTE_PGM_RSRC2:TGID_Z_EN: 0
; COMPUTE_PGM_RSRC2:TIDIG_COMP_CNT: 0
	.section	.text._Z17testOperationsGPUI15HIP_vector_typeIjLj3EES0_IjLj1EEEvPT_S4_i,"axG",@progbits,_Z17testOperationsGPUI15HIP_vector_typeIjLj3EES0_IjLj1EEEvPT_S4_i,comdat
	.protected	_Z17testOperationsGPUI15HIP_vector_typeIjLj3EES0_IjLj1EEEvPT_S4_i ; -- Begin function _Z17testOperationsGPUI15HIP_vector_typeIjLj3EES0_IjLj1EEEvPT_S4_i
	.globl	_Z17testOperationsGPUI15HIP_vector_typeIjLj3EES0_IjLj1EEEvPT_S4_i
	.p2align	8
	.type	_Z17testOperationsGPUI15HIP_vector_typeIjLj3EES0_IjLj1EEEvPT_S4_i,@function
_Z17testOperationsGPUI15HIP_vector_typeIjLj3EES0_IjLj1EEEvPT_S4_i: ; @_Z17testOperationsGPUI15HIP_vector_typeIjLj3EES0_IjLj1EEEvPT_S4_i
; %bb.0:
	s_load_b32 s2, s[0:1], 0x10
	s_wait_kmcnt 0x0
	v_cmp_ge_i32_e32 vcc_lo, s2, v0
	s_and_saveexec_b32 s2, vcc_lo
	s_cbranch_execz .LBB30_4
; %bb.1:
	s_load_b128 s[0:3], s[0:1], 0x0
	v_mov_b32_e32 v6, 0
	s_wait_kmcnt 0x0
	v_mad_nc_u64_u32 v[2:3], v0, 12, s[2:3]
	v_mad_nc_u64_u32 v[0:1], v0, 12, s[0:1]
	global_load_b32 v4, v[2:3], off
	global_load_b32 v5, v[0:1], off
	s_mov_b32 s0, exec_lo
	s_wait_loadcnt 0x0
	v_add3_u32 v4, v4, v5, 1
	global_store_b32 v[0:1], v4, off
	global_load_b32 v5, v[2:3], off
	s_wait_loadcnt 0x0
	v_add_nc_u32_e32 v7, 1, v5
	global_store_b32 v[0:1], v7, off offset:4
	s_clause 0x1
	global_load_b32 v4, v[2:3], off offset:4
	global_store_b32 v[2:3], v7, off
	s_wait_loadcnt 0x0
	global_store_b32 v[0:1], v4, off
	s_wait_xcnt 0x0
	v_cmpx_ne_u32_e32 0, v4
	s_cbranch_execz .LBB30_3
; %bb.2:
	global_load_b32 v6, v[2:3], off
	v_cvt_f32_u32_e32 v7, v4
	v_sub_nc_u32_e32 v8, 0, v4
	s_delay_alu instid0(VALU_DEP_2) | instskip(SKIP_1) | instid1(TRANS32_DEP_1)
	v_rcp_iflag_f32_e32 v7, v7
	v_nop
	v_mul_f32_e32 v7, 0x4f7ffffe, v7
	s_delay_alu instid0(VALU_DEP_1) | instskip(NEXT) | instid1(VALU_DEP_1)
	v_cvt_u32_f32_e32 v7, v7
	v_mul_lo_u32 v8, v8, v7
	s_delay_alu instid0(VALU_DEP_1) | instskip(NEXT) | instid1(VALU_DEP_1)
	v_mul_hi_u32 v8, v7, v8
	v_add_nc_u32_e32 v7, v7, v8
	s_wait_loadcnt 0x0
	s_delay_alu instid0(VALU_DEP_1) | instskip(NEXT) | instid1(VALU_DEP_1)
	v_mul_hi_u32 v7, v6, v7
	v_mul_lo_u32 v8, v7, v4
	s_delay_alu instid0(VALU_DEP_1) | instskip(NEXT) | instid1(VALU_DEP_1)
	v_dual_sub_nc_u32 v6, v6, v8 :: v_dual_add_nc_u32 v8, 1, v7
	v_sub_nc_u32_e32 v9, v6, v4
	v_cmp_ge_u32_e32 vcc_lo, v6, v4
	s_delay_alu instid0(VALU_DEP_2) | instskip(NEXT) | instid1(VALU_DEP_1)
	v_dual_cndmask_b32 v7, v7, v8 :: v_dual_cndmask_b32 v6, v6, v9
	v_add_nc_u32_e32 v8, 1, v7
	s_delay_alu instid0(VALU_DEP_2) | instskip(NEXT) | instid1(VALU_DEP_2)
	v_cmp_ge_u32_e32 vcc_lo, v6, v4
	v_cndmask_b32_e32 v4, v7, v8, vcc_lo
	global_store_b32 v[2:3], v4, off
	global_load_b32 v6, v[0:1], off
.LBB30_3:
	s_wait_xcnt 0x0
	s_or_b32 exec_lo, exec_lo, s0
	global_load_b32 v2, v[2:3], off offset:8
	s_wait_loadcnt 0x0
	v_mul_lo_u32 v4, v2, v6
	global_store_b64 v[0:1], v[4:5], off
.LBB30_4:
	s_endpgm
	.section	.rodata,"a",@progbits
	.p2align	6, 0x0
	.amdhsa_kernel _Z17testOperationsGPUI15HIP_vector_typeIjLj3EES0_IjLj1EEEvPT_S4_i
		.amdhsa_group_segment_fixed_size 0
		.amdhsa_private_segment_fixed_size 0
		.amdhsa_kernarg_size 20
		.amdhsa_user_sgpr_count 2
		.amdhsa_user_sgpr_dispatch_ptr 0
		.amdhsa_user_sgpr_queue_ptr 0
		.amdhsa_user_sgpr_kernarg_segment_ptr 1
		.amdhsa_user_sgpr_dispatch_id 0
		.amdhsa_user_sgpr_kernarg_preload_length 0
		.amdhsa_user_sgpr_kernarg_preload_offset 0
		.amdhsa_user_sgpr_private_segment_size 0
		.amdhsa_wavefront_size32 1
		.amdhsa_uses_dynamic_stack 0
		.amdhsa_enable_private_segment 0
		.amdhsa_system_sgpr_workgroup_id_x 1
		.amdhsa_system_sgpr_workgroup_id_y 0
		.amdhsa_system_sgpr_workgroup_id_z 0
		.amdhsa_system_sgpr_workgroup_info 0
		.amdhsa_system_vgpr_workitem_id 0
		.amdhsa_next_free_vgpr 10
		.amdhsa_next_free_sgpr 4
		.amdhsa_named_barrier_count 0
		.amdhsa_reserve_vcc 1
		.amdhsa_float_round_mode_32 0
		.amdhsa_float_round_mode_16_64 0
		.amdhsa_float_denorm_mode_32 3
		.amdhsa_float_denorm_mode_16_64 3
		.amdhsa_fp16_overflow 0
		.amdhsa_memory_ordered 1
		.amdhsa_forward_progress 1
		.amdhsa_inst_pref_size 4
		.amdhsa_round_robin_scheduling 0
		.amdhsa_exception_fp_ieee_invalid_op 0
		.amdhsa_exception_fp_denorm_src 0
		.amdhsa_exception_fp_ieee_div_zero 0
		.amdhsa_exception_fp_ieee_overflow 0
		.amdhsa_exception_fp_ieee_underflow 0
		.amdhsa_exception_fp_ieee_inexact 0
		.amdhsa_exception_int_div_zero 0
	.end_amdhsa_kernel
	.section	.text._Z17testOperationsGPUI15HIP_vector_typeIjLj3EES0_IjLj1EEEvPT_S4_i,"axG",@progbits,_Z17testOperationsGPUI15HIP_vector_typeIjLj3EES0_IjLj1EEEvPT_S4_i,comdat
.Lfunc_end30:
	.size	_Z17testOperationsGPUI15HIP_vector_typeIjLj3EES0_IjLj1EEEvPT_S4_i, .Lfunc_end30-_Z17testOperationsGPUI15HIP_vector_typeIjLj3EES0_IjLj1EEEvPT_S4_i
                                        ; -- End function
	.set _Z17testOperationsGPUI15HIP_vector_typeIjLj3EES0_IjLj1EEEvPT_S4_i.num_vgpr, 10
	.set _Z17testOperationsGPUI15HIP_vector_typeIjLj3EES0_IjLj1EEEvPT_S4_i.num_agpr, 0
	.set _Z17testOperationsGPUI15HIP_vector_typeIjLj3EES0_IjLj1EEEvPT_S4_i.numbered_sgpr, 4
	.set _Z17testOperationsGPUI15HIP_vector_typeIjLj3EES0_IjLj1EEEvPT_S4_i.num_named_barrier, 0
	.set _Z17testOperationsGPUI15HIP_vector_typeIjLj3EES0_IjLj1EEEvPT_S4_i.private_seg_size, 0
	.set _Z17testOperationsGPUI15HIP_vector_typeIjLj3EES0_IjLj1EEEvPT_S4_i.uses_vcc, 1
	.set _Z17testOperationsGPUI15HIP_vector_typeIjLj3EES0_IjLj1EEEvPT_S4_i.uses_flat_scratch, 0
	.set _Z17testOperationsGPUI15HIP_vector_typeIjLj3EES0_IjLj1EEEvPT_S4_i.has_dyn_sized_stack, 0
	.set _Z17testOperationsGPUI15HIP_vector_typeIjLj3EES0_IjLj1EEEvPT_S4_i.has_recursion, 0
	.set _Z17testOperationsGPUI15HIP_vector_typeIjLj3EES0_IjLj1EEEvPT_S4_i.has_indirect_call, 0
	.section	.AMDGPU.csdata,"",@progbits
; Kernel info:
; codeLenInByte = 416
; TotalNumSgprs: 6
; NumVgprs: 10
; ScratchSize: 0
; MemoryBound: 0
; FloatMode: 240
; IeeeMode: 1
; LDSByteSize: 0 bytes/workgroup (compile time only)
; SGPRBlocks: 0
; VGPRBlocks: 0
; NumSGPRsForWavesPerEU: 6
; NumVGPRsForWavesPerEU: 10
; NamedBarCnt: 0
; Occupancy: 16
; WaveLimiterHint : 0
; COMPUTE_PGM_RSRC2:SCRATCH_EN: 0
; COMPUTE_PGM_RSRC2:USER_SGPR: 2
; COMPUTE_PGM_RSRC2:TRAP_HANDLER: 0
; COMPUTE_PGM_RSRC2:TGID_X_EN: 1
; COMPUTE_PGM_RSRC2:TGID_Y_EN: 0
; COMPUTE_PGM_RSRC2:TGID_Z_EN: 0
; COMPUTE_PGM_RSRC2:TIDIG_COMP_CNT: 0
	.section	.text._Z17testOperationsGPUI15HIP_vector_typeIjLj4EES0_IjLj1EEEvPT_S4_i,"axG",@progbits,_Z17testOperationsGPUI15HIP_vector_typeIjLj4EES0_IjLj1EEEvPT_S4_i,comdat
	.protected	_Z17testOperationsGPUI15HIP_vector_typeIjLj4EES0_IjLj1EEEvPT_S4_i ; -- Begin function _Z17testOperationsGPUI15HIP_vector_typeIjLj4EES0_IjLj1EEEvPT_S4_i
	.globl	_Z17testOperationsGPUI15HIP_vector_typeIjLj4EES0_IjLj1EEEvPT_S4_i
	.p2align	8
	.type	_Z17testOperationsGPUI15HIP_vector_typeIjLj4EES0_IjLj1EEEvPT_S4_i,@function
_Z17testOperationsGPUI15HIP_vector_typeIjLj4EES0_IjLj1EEEvPT_S4_i: ; @_Z17testOperationsGPUI15HIP_vector_typeIjLj4EES0_IjLj1EEEvPT_S4_i
; %bb.0:
	s_load_b32 s2, s[0:1], 0x10
	s_wait_kmcnt 0x0
	v_cmp_ge_i32_e32 vcc_lo, s2, v0
	s_and_saveexec_b32 s2, vcc_lo
	s_cbranch_execz .LBB31_4
; %bb.1:
	s_load_b128 s[0:3], s[0:1], 0x0
	v_dual_mov_b32 v7, 0 :: v_dual_lshlrev_b32 v6, 4, v0
	s_wait_kmcnt 0x0
	s_clause 0x1
	global_load_b32 v0, v6, s[2:3]
	global_load_b32 v1, v6, s[0:1]
	s_wait_loadcnt 0x0
	v_add3_u32 v0, v0, v1, 1
	s_clause 0x1
	global_store_b32 v6, v0, s[0:1]
	global_load_b32 v1, v6, s[2:3]
	s_wait_loadcnt 0x0
	v_add_nc_u32_e32 v8, 1, v1
	v_add_nc_u64_e32 v[2:3], s[0:1], v[6:7]
	v_add_nc_u64_e32 v[4:5], s[2:3], v[6:7]
	s_clause 0x2
	global_store_b32 v6, v8, s[0:1] offset:4
	global_load_b32 v0, v6, s[2:3] offset:4
	global_store_b32 v6, v8, s[2:3]
	s_wait_loadcnt 0x0
	global_store_b32 v6, v0, s[0:1]
	s_wait_xcnt 0x0
	s_mov_b32 s0, exec_lo
	v_cmpx_ne_u32_e32 0, v0
	s_cbranch_execz .LBB31_3
; %bb.2:
	global_load_b32 v6, v[4:5], off
	v_cvt_f32_u32_e32 v7, v0
	v_sub_nc_u32_e32 v8, 0, v0
	s_delay_alu instid0(VALU_DEP_2) | instskip(SKIP_1) | instid1(TRANS32_DEP_1)
	v_rcp_iflag_f32_e32 v7, v7
	v_nop
	v_mul_f32_e32 v7, 0x4f7ffffe, v7
	s_delay_alu instid0(VALU_DEP_1) | instskip(NEXT) | instid1(VALU_DEP_1)
	v_cvt_u32_f32_e32 v7, v7
	v_mul_lo_u32 v8, v8, v7
	s_delay_alu instid0(VALU_DEP_1) | instskip(NEXT) | instid1(VALU_DEP_1)
	v_mul_hi_u32 v8, v7, v8
	v_add_nc_u32_e32 v7, v7, v8
	s_wait_loadcnt 0x0
	s_delay_alu instid0(VALU_DEP_1) | instskip(NEXT) | instid1(VALU_DEP_1)
	v_mul_hi_u32 v7, v6, v7
	v_mul_lo_u32 v8, v7, v0
	s_delay_alu instid0(VALU_DEP_1) | instskip(NEXT) | instid1(VALU_DEP_1)
	v_dual_sub_nc_u32 v6, v6, v8 :: v_dual_add_nc_u32 v8, 1, v7
	v_sub_nc_u32_e32 v9, v6, v0
	v_cmp_ge_u32_e32 vcc_lo, v6, v0
	s_delay_alu instid0(VALU_DEP_2) | instskip(NEXT) | instid1(VALU_DEP_1)
	v_dual_cndmask_b32 v7, v7, v8 :: v_dual_cndmask_b32 v6, v6, v9
	v_add_nc_u32_e32 v8, 1, v7
	s_delay_alu instid0(VALU_DEP_2) | instskip(NEXT) | instid1(VALU_DEP_2)
	v_cmp_ge_u32_e32 vcc_lo, v6, v0
	v_cndmask_b32_e32 v0, v7, v8, vcc_lo
	global_store_b32 v[4:5], v0, off
	global_load_b32 v7, v[2:3], off
.LBB31_3:
	s_wait_xcnt 0x0
	s_or_b32 exec_lo, exec_lo, s0
	global_load_b32 v0, v[4:5], off offset:8
	s_wait_loadcnt 0x0
	v_mul_lo_u32 v0, v0, v7
	global_store_b64 v[2:3], v[0:1], off
	s_clause 0x1
	global_store_b32 v[4:5], v0, off offset:12
	global_load_b32 v0, v[4:5], off offset:4
	global_load_b32 v1, v[2:3], off offset:12
	s_wait_loadcnt 0x0
	v_sub_nc_u32_e32 v0, v1, v0
	global_store_b32 v[2:3], v0, off offset:12
.LBB31_4:
	s_endpgm
	.section	.rodata,"a",@progbits
	.p2align	6, 0x0
	.amdhsa_kernel _Z17testOperationsGPUI15HIP_vector_typeIjLj4EES0_IjLj1EEEvPT_S4_i
		.amdhsa_group_segment_fixed_size 0
		.amdhsa_private_segment_fixed_size 0
		.amdhsa_kernarg_size 20
		.amdhsa_user_sgpr_count 2
		.amdhsa_user_sgpr_dispatch_ptr 0
		.amdhsa_user_sgpr_queue_ptr 0
		.amdhsa_user_sgpr_kernarg_segment_ptr 1
		.amdhsa_user_sgpr_dispatch_id 0
		.amdhsa_user_sgpr_kernarg_preload_length 0
		.amdhsa_user_sgpr_kernarg_preload_offset 0
		.amdhsa_user_sgpr_private_segment_size 0
		.amdhsa_wavefront_size32 1
		.amdhsa_uses_dynamic_stack 0
		.amdhsa_enable_private_segment 0
		.amdhsa_system_sgpr_workgroup_id_x 1
		.amdhsa_system_sgpr_workgroup_id_y 0
		.amdhsa_system_sgpr_workgroup_id_z 0
		.amdhsa_system_sgpr_workgroup_info 0
		.amdhsa_system_vgpr_workitem_id 0
		.amdhsa_next_free_vgpr 10
		.amdhsa_next_free_sgpr 4
		.amdhsa_named_barrier_count 0
		.amdhsa_reserve_vcc 1
		.amdhsa_float_round_mode_32 0
		.amdhsa_float_round_mode_16_64 0
		.amdhsa_float_denorm_mode_32 3
		.amdhsa_float_denorm_mode_16_64 3
		.amdhsa_fp16_overflow 0
		.amdhsa_memory_ordered 1
		.amdhsa_forward_progress 1
		.amdhsa_inst_pref_size 4
		.amdhsa_round_robin_scheduling 0
		.amdhsa_exception_fp_ieee_invalid_op 0
		.amdhsa_exception_fp_denorm_src 0
		.amdhsa_exception_fp_ieee_div_zero 0
		.amdhsa_exception_fp_ieee_overflow 0
		.amdhsa_exception_fp_ieee_underflow 0
		.amdhsa_exception_fp_ieee_inexact 0
		.amdhsa_exception_int_div_zero 0
	.end_amdhsa_kernel
	.section	.text._Z17testOperationsGPUI15HIP_vector_typeIjLj4EES0_IjLj1EEEvPT_S4_i,"axG",@progbits,_Z17testOperationsGPUI15HIP_vector_typeIjLj4EES0_IjLj1EEEvPT_S4_i,comdat
.Lfunc_end31:
	.size	_Z17testOperationsGPUI15HIP_vector_typeIjLj4EES0_IjLj1EEEvPT_S4_i, .Lfunc_end31-_Z17testOperationsGPUI15HIP_vector_typeIjLj4EES0_IjLj1EEEvPT_S4_i
                                        ; -- End function
	.set _Z17testOperationsGPUI15HIP_vector_typeIjLj4EES0_IjLj1EEEvPT_S4_i.num_vgpr, 10
	.set _Z17testOperationsGPUI15HIP_vector_typeIjLj4EES0_IjLj1EEEvPT_S4_i.num_agpr, 0
	.set _Z17testOperationsGPUI15HIP_vector_typeIjLj4EES0_IjLj1EEEvPT_S4_i.numbered_sgpr, 4
	.set _Z17testOperationsGPUI15HIP_vector_typeIjLj4EES0_IjLj1EEEvPT_S4_i.num_named_barrier, 0
	.set _Z17testOperationsGPUI15HIP_vector_typeIjLj4EES0_IjLj1EEEvPT_S4_i.private_seg_size, 0
	.set _Z17testOperationsGPUI15HIP_vector_typeIjLj4EES0_IjLj1EEEvPT_S4_i.uses_vcc, 1
	.set _Z17testOperationsGPUI15HIP_vector_typeIjLj4EES0_IjLj1EEEvPT_S4_i.uses_flat_scratch, 0
	.set _Z17testOperationsGPUI15HIP_vector_typeIjLj4EES0_IjLj1EEEvPT_S4_i.has_dyn_sized_stack, 0
	.set _Z17testOperationsGPUI15HIP_vector_typeIjLj4EES0_IjLj1EEEvPT_S4_i.has_recursion, 0
	.set _Z17testOperationsGPUI15HIP_vector_typeIjLj4EES0_IjLj1EEEvPT_S4_i.has_indirect_call, 0
	.section	.AMDGPU.csdata,"",@progbits
; Kernel info:
; codeLenInByte = 480
; TotalNumSgprs: 6
; NumVgprs: 10
; ScratchSize: 0
; MemoryBound: 0
; FloatMode: 240
; IeeeMode: 1
; LDSByteSize: 0 bytes/workgroup (compile time only)
; SGPRBlocks: 0
; VGPRBlocks: 0
; NumSGPRsForWavesPerEU: 6
; NumVGPRsForWavesPerEU: 10
; NamedBarCnt: 0
; Occupancy: 16
; WaveLimiterHint : 0
; COMPUTE_PGM_RSRC2:SCRATCH_EN: 0
; COMPUTE_PGM_RSRC2:USER_SGPR: 2
; COMPUTE_PGM_RSRC2:TRAP_HANDLER: 0
; COMPUTE_PGM_RSRC2:TGID_X_EN: 1
; COMPUTE_PGM_RSRC2:TGID_Y_EN: 0
; COMPUTE_PGM_RSRC2:TGID_Z_EN: 0
; COMPUTE_PGM_RSRC2:TIDIG_COMP_CNT: 0
	.section	.text._Z17testOperationsGPUI15HIP_vector_typeIhLj1EES1_EvPT_S3_i,"axG",@progbits,_Z17testOperationsGPUI15HIP_vector_typeIhLj1EES1_EvPT_S3_i,comdat
	.protected	_Z17testOperationsGPUI15HIP_vector_typeIhLj1EES1_EvPT_S3_i ; -- Begin function _Z17testOperationsGPUI15HIP_vector_typeIhLj1EES1_EvPT_S3_i
	.globl	_Z17testOperationsGPUI15HIP_vector_typeIhLj1EES1_EvPT_S3_i
	.p2align	8
	.type	_Z17testOperationsGPUI15HIP_vector_typeIhLj1EES1_EvPT_S3_i,@function
_Z17testOperationsGPUI15HIP_vector_typeIhLj1EES1_EvPT_S3_i: ; @_Z17testOperationsGPUI15HIP_vector_typeIhLj1EES1_EvPT_S3_i
; %bb.0:
	s_load_b32 s2, s[0:1], 0x10
	s_wait_kmcnt 0x0
	v_cmp_ge_i32_e32 vcc_lo, s2, v0
	s_and_saveexec_b32 s2, vcc_lo
	s_cbranch_execz .LBB32_2
; %bb.1:
	s_load_b128 s[0:3], s[0:1], 0x0
	s_wait_kmcnt 0x0
	s_clause 0x1
	global_load_u8 v1, v0, s[2:3]
	global_load_u8 v2, v0, s[0:1]
	s_wait_loadcnt 0x0
	v_add_nc_u16 v1, v1, v2
	s_delay_alu instid0(VALU_DEP_1)
	v_add_nc_u16 v1, v1, 1
	s_clause 0x1
	global_store_b8 v0, v1, s[0:1]
	global_load_u8 v1, v0, s[2:3]
	s_wait_loadcnt 0x0
	v_add_nc_u16 v1, v1, 1
	global_store_b8 v0, v1, s[2:3]
.LBB32_2:
	s_endpgm
	.section	.rodata,"a",@progbits
	.p2align	6, 0x0
	.amdhsa_kernel _Z17testOperationsGPUI15HIP_vector_typeIhLj1EES1_EvPT_S3_i
		.amdhsa_group_segment_fixed_size 0
		.amdhsa_private_segment_fixed_size 0
		.amdhsa_kernarg_size 20
		.amdhsa_user_sgpr_count 2
		.amdhsa_user_sgpr_dispatch_ptr 0
		.amdhsa_user_sgpr_queue_ptr 0
		.amdhsa_user_sgpr_kernarg_segment_ptr 1
		.amdhsa_user_sgpr_dispatch_id 0
		.amdhsa_user_sgpr_kernarg_preload_length 0
		.amdhsa_user_sgpr_kernarg_preload_offset 0
		.amdhsa_user_sgpr_private_segment_size 0
		.amdhsa_wavefront_size32 1
		.amdhsa_uses_dynamic_stack 0
		.amdhsa_enable_private_segment 0
		.amdhsa_system_sgpr_workgroup_id_x 1
		.amdhsa_system_sgpr_workgroup_id_y 0
		.amdhsa_system_sgpr_workgroup_id_z 0
		.amdhsa_system_sgpr_workgroup_info 0
		.amdhsa_system_vgpr_workitem_id 0
		.amdhsa_next_free_vgpr 3
		.amdhsa_next_free_sgpr 4
		.amdhsa_named_barrier_count 0
		.amdhsa_reserve_vcc 1
		.amdhsa_float_round_mode_32 0
		.amdhsa_float_round_mode_16_64 0
		.amdhsa_float_denorm_mode_32 3
		.amdhsa_float_denorm_mode_16_64 3
		.amdhsa_fp16_overflow 0
		.amdhsa_memory_ordered 1
		.amdhsa_forward_progress 1
		.amdhsa_inst_pref_size 2
		.amdhsa_round_robin_scheduling 0
		.amdhsa_exception_fp_ieee_invalid_op 0
		.amdhsa_exception_fp_denorm_src 0
		.amdhsa_exception_fp_ieee_div_zero 0
		.amdhsa_exception_fp_ieee_overflow 0
		.amdhsa_exception_fp_ieee_underflow 0
		.amdhsa_exception_fp_ieee_inexact 0
		.amdhsa_exception_int_div_zero 0
	.end_amdhsa_kernel
	.section	.text._Z17testOperationsGPUI15HIP_vector_typeIhLj1EES1_EvPT_S3_i,"axG",@progbits,_Z17testOperationsGPUI15HIP_vector_typeIhLj1EES1_EvPT_S3_i,comdat
.Lfunc_end32:
	.size	_Z17testOperationsGPUI15HIP_vector_typeIhLj1EES1_EvPT_S3_i, .Lfunc_end32-_Z17testOperationsGPUI15HIP_vector_typeIhLj1EES1_EvPT_S3_i
                                        ; -- End function
	.set _Z17testOperationsGPUI15HIP_vector_typeIhLj1EES1_EvPT_S3_i.num_vgpr, 3
	.set _Z17testOperationsGPUI15HIP_vector_typeIhLj1EES1_EvPT_S3_i.num_agpr, 0
	.set _Z17testOperationsGPUI15HIP_vector_typeIhLj1EES1_EvPT_S3_i.numbered_sgpr, 4
	.set _Z17testOperationsGPUI15HIP_vector_typeIhLj1EES1_EvPT_S3_i.num_named_barrier, 0
	.set _Z17testOperationsGPUI15HIP_vector_typeIhLj1EES1_EvPT_S3_i.private_seg_size, 0
	.set _Z17testOperationsGPUI15HIP_vector_typeIhLj1EES1_EvPT_S3_i.uses_vcc, 1
	.set _Z17testOperationsGPUI15HIP_vector_typeIhLj1EES1_EvPT_S3_i.uses_flat_scratch, 0
	.set _Z17testOperationsGPUI15HIP_vector_typeIhLj1EES1_EvPT_S3_i.has_dyn_sized_stack, 0
	.set _Z17testOperationsGPUI15HIP_vector_typeIhLj1EES1_EvPT_S3_i.has_recursion, 0
	.set _Z17testOperationsGPUI15HIP_vector_typeIhLj1EES1_EvPT_S3_i.has_indirect_call, 0
	.section	.AMDGPU.csdata,"",@progbits
; Kernel info:
; codeLenInByte = 144
; TotalNumSgprs: 6
; NumVgprs: 3
; ScratchSize: 0
; MemoryBound: 0
; FloatMode: 240
; IeeeMode: 1
; LDSByteSize: 0 bytes/workgroup (compile time only)
; SGPRBlocks: 0
; VGPRBlocks: 0
; NumSGPRsForWavesPerEU: 6
; NumVGPRsForWavesPerEU: 3
; NamedBarCnt: 0
; Occupancy: 16
; WaveLimiterHint : 0
; COMPUTE_PGM_RSRC2:SCRATCH_EN: 0
; COMPUTE_PGM_RSRC2:USER_SGPR: 2
; COMPUTE_PGM_RSRC2:TRAP_HANDLER: 0
; COMPUTE_PGM_RSRC2:TGID_X_EN: 1
; COMPUTE_PGM_RSRC2:TGID_Y_EN: 0
; COMPUTE_PGM_RSRC2:TGID_Z_EN: 0
; COMPUTE_PGM_RSRC2:TIDIG_COMP_CNT: 0
	.section	.text._Z17testOperationsGPUI15HIP_vector_typeIhLj2EES0_IhLj1EEEvPT_S4_i,"axG",@progbits,_Z17testOperationsGPUI15HIP_vector_typeIhLj2EES0_IhLj1EEEvPT_S4_i,comdat
	.protected	_Z17testOperationsGPUI15HIP_vector_typeIhLj2EES0_IhLj1EEEvPT_S4_i ; -- Begin function _Z17testOperationsGPUI15HIP_vector_typeIhLj2EES0_IhLj1EEEvPT_S4_i
	.globl	_Z17testOperationsGPUI15HIP_vector_typeIhLj2EES0_IhLj1EEEvPT_S4_i
	.p2align	8
	.type	_Z17testOperationsGPUI15HIP_vector_typeIhLj2EES0_IhLj1EEEvPT_S4_i,@function
_Z17testOperationsGPUI15HIP_vector_typeIhLj2EES0_IhLj1EEEvPT_S4_i: ; @_Z17testOperationsGPUI15HIP_vector_typeIhLj2EES0_IhLj1EEEvPT_S4_i
; %bb.0:
	s_load_b32 s2, s[0:1], 0x10
	s_wait_kmcnt 0x0
	v_cmp_ge_i32_e32 vcc_lo, s2, v0
	s_and_saveexec_b32 s2, vcc_lo
	s_cbranch_execz .LBB33_2
; %bb.1:
	s_load_b128 s[0:3], s[0:1], 0x0
	v_lshlrev_b32_e32 v0, 1, v0
	s_wait_kmcnt 0x0
	s_clause 0x1
	global_load_u8 v1, v0, s[2:3]
	global_load_u8 v2, v0, s[0:1]
	s_wait_loadcnt 0x0
	v_add_nc_u16 v1, v1, v2
	s_delay_alu instid0(VALU_DEP_1)
	v_add_nc_u16 v1, v1, 1
	s_clause 0x1
	global_store_b8 v0, v1, s[0:1]
	global_load_u8 v1, v0, s[2:3]
	s_wait_loadcnt 0x0
	v_add_nc_u16 v1, v1, 1
	s_clause 0x2
	global_store_b8 v0, v1, s[0:1] offset:1
	global_load_u8 v2, v0, s[2:3] offset:1
	global_store_b8 v0, v1, s[2:3]
	s_wait_loadcnt 0x0
	global_store_b8 v0, v2, s[0:1]
.LBB33_2:
	s_endpgm
	.section	.rodata,"a",@progbits
	.p2align	6, 0x0
	.amdhsa_kernel _Z17testOperationsGPUI15HIP_vector_typeIhLj2EES0_IhLj1EEEvPT_S4_i
		.amdhsa_group_segment_fixed_size 0
		.amdhsa_private_segment_fixed_size 0
		.amdhsa_kernarg_size 20
		.amdhsa_user_sgpr_count 2
		.amdhsa_user_sgpr_dispatch_ptr 0
		.amdhsa_user_sgpr_queue_ptr 0
		.amdhsa_user_sgpr_kernarg_segment_ptr 1
		.amdhsa_user_sgpr_dispatch_id 0
		.amdhsa_user_sgpr_kernarg_preload_length 0
		.amdhsa_user_sgpr_kernarg_preload_offset 0
		.amdhsa_user_sgpr_private_segment_size 0
		.amdhsa_wavefront_size32 1
		.amdhsa_uses_dynamic_stack 0
		.amdhsa_enable_private_segment 0
		.amdhsa_system_sgpr_workgroup_id_x 1
		.amdhsa_system_sgpr_workgroup_id_y 0
		.amdhsa_system_sgpr_workgroup_id_z 0
		.amdhsa_system_sgpr_workgroup_info 0
		.amdhsa_system_vgpr_workitem_id 0
		.amdhsa_next_free_vgpr 3
		.amdhsa_next_free_sgpr 4
		.amdhsa_named_barrier_count 0
		.amdhsa_reserve_vcc 1
		.amdhsa_float_round_mode_32 0
		.amdhsa_float_round_mode_16_64 0
		.amdhsa_float_denorm_mode_32 3
		.amdhsa_float_denorm_mode_16_64 3
		.amdhsa_fp16_overflow 0
		.amdhsa_memory_ordered 1
		.amdhsa_forward_progress 1
		.amdhsa_inst_pref_size 2
		.amdhsa_round_robin_scheduling 0
		.amdhsa_exception_fp_ieee_invalid_op 0
		.amdhsa_exception_fp_denorm_src 0
		.amdhsa_exception_fp_ieee_div_zero 0
		.amdhsa_exception_fp_ieee_overflow 0
		.amdhsa_exception_fp_ieee_underflow 0
		.amdhsa_exception_fp_ieee_inexact 0
		.amdhsa_exception_int_div_zero 0
	.end_amdhsa_kernel
	.section	.text._Z17testOperationsGPUI15HIP_vector_typeIhLj2EES0_IhLj1EEEvPT_S4_i,"axG",@progbits,_Z17testOperationsGPUI15HIP_vector_typeIhLj2EES0_IhLj1EEEvPT_S4_i,comdat
.Lfunc_end33:
	.size	_Z17testOperationsGPUI15HIP_vector_typeIhLj2EES0_IhLj1EEEvPT_S4_i, .Lfunc_end33-_Z17testOperationsGPUI15HIP_vector_typeIhLj2EES0_IhLj1EEEvPT_S4_i
                                        ; -- End function
	.set _Z17testOperationsGPUI15HIP_vector_typeIhLj2EES0_IhLj1EEEvPT_S4_i.num_vgpr, 3
	.set _Z17testOperationsGPUI15HIP_vector_typeIhLj2EES0_IhLj1EEEvPT_S4_i.num_agpr, 0
	.set _Z17testOperationsGPUI15HIP_vector_typeIhLj2EES0_IhLj1EEEvPT_S4_i.numbered_sgpr, 4
	.set _Z17testOperationsGPUI15HIP_vector_typeIhLj2EES0_IhLj1EEEvPT_S4_i.num_named_barrier, 0
	.set _Z17testOperationsGPUI15HIP_vector_typeIhLj2EES0_IhLj1EEEvPT_S4_i.private_seg_size, 0
	.set _Z17testOperationsGPUI15HIP_vector_typeIhLj2EES0_IhLj1EEEvPT_S4_i.uses_vcc, 1
	.set _Z17testOperationsGPUI15HIP_vector_typeIhLj2EES0_IhLj1EEEvPT_S4_i.uses_flat_scratch, 0
	.set _Z17testOperationsGPUI15HIP_vector_typeIhLj2EES0_IhLj1EEEvPT_S4_i.has_dyn_sized_stack, 0
	.set _Z17testOperationsGPUI15HIP_vector_typeIhLj2EES0_IhLj1EEEvPT_S4_i.has_recursion, 0
	.set _Z17testOperationsGPUI15HIP_vector_typeIhLj2EES0_IhLj1EEEvPT_S4_i.has_indirect_call, 0
	.section	.AMDGPU.csdata,"",@progbits
; Kernel info:
; codeLenInByte = 192
; TotalNumSgprs: 6
; NumVgprs: 3
; ScratchSize: 0
; MemoryBound: 0
; FloatMode: 240
; IeeeMode: 1
; LDSByteSize: 0 bytes/workgroup (compile time only)
; SGPRBlocks: 0
; VGPRBlocks: 0
; NumSGPRsForWavesPerEU: 6
; NumVGPRsForWavesPerEU: 3
; NamedBarCnt: 0
; Occupancy: 16
; WaveLimiterHint : 0
; COMPUTE_PGM_RSRC2:SCRATCH_EN: 0
; COMPUTE_PGM_RSRC2:USER_SGPR: 2
; COMPUTE_PGM_RSRC2:TRAP_HANDLER: 0
; COMPUTE_PGM_RSRC2:TGID_X_EN: 1
; COMPUTE_PGM_RSRC2:TGID_Y_EN: 0
; COMPUTE_PGM_RSRC2:TGID_Z_EN: 0
; COMPUTE_PGM_RSRC2:TIDIG_COMP_CNT: 0
	.section	.text._Z17testOperationsGPUI15HIP_vector_typeIhLj3EES0_IhLj1EEEvPT_S4_i,"axG",@progbits,_Z17testOperationsGPUI15HIP_vector_typeIhLj3EES0_IhLj1EEEvPT_S4_i,comdat
	.protected	_Z17testOperationsGPUI15HIP_vector_typeIhLj3EES0_IhLj1EEEvPT_S4_i ; -- Begin function _Z17testOperationsGPUI15HIP_vector_typeIhLj3EES0_IhLj1EEEvPT_S4_i
	.globl	_Z17testOperationsGPUI15HIP_vector_typeIhLj3EES0_IhLj1EEEvPT_S4_i
	.p2align	8
	.type	_Z17testOperationsGPUI15HIP_vector_typeIhLj3EES0_IhLj1EEEvPT_S4_i,@function
_Z17testOperationsGPUI15HIP_vector_typeIhLj3EES0_IhLj1EEEvPT_S4_i: ; @_Z17testOperationsGPUI15HIP_vector_typeIhLj3EES0_IhLj1EEEvPT_S4_i
; %bb.0:
	s_load_b32 s2, s[0:1], 0x10
	s_wait_kmcnt 0x0
	v_cmp_ge_i32_e32 vcc_lo, s2, v0
	s_and_saveexec_b32 s2, vcc_lo
	s_cbranch_execz .LBB34_4
; %bb.1:
	s_load_b128 s[0:3], s[0:1], 0x0
	s_wait_kmcnt 0x0
	v_mad_nc_u64_u32 v[2:3], v0, 3, s[2:3]
	v_mad_nc_u64_u32 v[0:1], v0, 3, s[0:1]
	s_mov_b32 s0, exec_lo
	global_load_u8 v4, v[2:3], off
	global_load_u8 v5, v[0:1], off
	s_wait_loadcnt 0x0
	v_add_nc_u16 v4, v4, v5
	v_mov_b32_e32 v5, 0
	s_delay_alu instid0(VALU_DEP_2)
	v_add_nc_u16 v4, v4, 1
	global_store_b8 v[0:1], v4, off
	global_load_u8 v4, v[2:3], off
	s_wait_loadcnt 0x0
	v_add_nc_u16 v7, v4, 1
	global_store_b8 v[0:1], v7, off offset:1
	s_clause 0x1
	global_load_u8 v6, v[2:3], off offset:1
	global_store_b8 v[2:3], v7, off
	s_wait_loadcnt 0x0
	global_store_b8 v[0:1], v6, off
	s_wait_xcnt 0x0
	v_cmpx_ne_u16_e32 0, v6
	s_cbranch_execz .LBB34_3
; %bb.2:
	global_load_u8 v5, v[2:3], off
	v_cvt_f32_ubyte0_e32 v6, v6
	s_delay_alu instid0(VALU_DEP_1)
	v_rcp_iflag_f32_e32 v7, v6
	s_wait_loadcnt 0x0
	v_cvt_f32_ubyte0_e32 v5, v5
	s_delay_alu instid0(TRANS32_DEP_1) | instid1(VALU_DEP_1)
	v_mul_f32_e32 v7, v5, v7
	s_delay_alu instid0(VALU_DEP_1) | instskip(NEXT) | instid1(VALU_DEP_1)
	v_trunc_f32_e32 v7, v7
	v_fma_f32 v5, -v7, v6, v5
	v_cvt_u32_f32_e32 v7, v7
	s_delay_alu instid0(VALU_DEP_2) | instskip(NEXT) | instid1(VALU_DEP_1)
	v_cmp_ge_f32_e64 vcc_lo, |v5|, v6
	v_add_co_ci_u32_e64 v5, null, 0, v7, vcc_lo
	global_store_b8 v[2:3], v5, off
	global_load_u8 v5, v[0:1], off
.LBB34_3:
	s_wait_xcnt 0x0
	s_or_b32 exec_lo, exec_lo, s0
	global_load_u8 v2, v[2:3], off offset:2
	s_wait_xcnt 0x0
	v_lshlrev_b16 v3, 8, v4
	s_wait_loadcnt 0x0
	v_mul_lo_u16 v2, v2, v5
	s_delay_alu instid0(VALU_DEP_1)
	v_bitop3_b16 v2, v2, v3, 0xff bitop3:0xec
	global_store_b16 v[0:1], v2, off
.LBB34_4:
	s_endpgm
	.section	.rodata,"a",@progbits
	.p2align	6, 0x0
	.amdhsa_kernel _Z17testOperationsGPUI15HIP_vector_typeIhLj3EES0_IhLj1EEEvPT_S4_i
		.amdhsa_group_segment_fixed_size 0
		.amdhsa_private_segment_fixed_size 0
		.amdhsa_kernarg_size 20
		.amdhsa_user_sgpr_count 2
		.amdhsa_user_sgpr_dispatch_ptr 0
		.amdhsa_user_sgpr_queue_ptr 0
		.amdhsa_user_sgpr_kernarg_segment_ptr 1
		.amdhsa_user_sgpr_dispatch_id 0
		.amdhsa_user_sgpr_kernarg_preload_length 0
		.amdhsa_user_sgpr_kernarg_preload_offset 0
		.amdhsa_user_sgpr_private_segment_size 0
		.amdhsa_wavefront_size32 1
		.amdhsa_uses_dynamic_stack 0
		.amdhsa_enable_private_segment 0
		.amdhsa_system_sgpr_workgroup_id_x 1
		.amdhsa_system_sgpr_workgroup_id_y 0
		.amdhsa_system_sgpr_workgroup_id_z 0
		.amdhsa_system_sgpr_workgroup_info 0
		.amdhsa_system_vgpr_workitem_id 0
		.amdhsa_next_free_vgpr 8
		.amdhsa_next_free_sgpr 4
		.amdhsa_named_barrier_count 0
		.amdhsa_reserve_vcc 1
		.amdhsa_float_round_mode_32 0
		.amdhsa_float_round_mode_16_64 0
		.amdhsa_float_denorm_mode_32 3
		.amdhsa_float_denorm_mode_16_64 3
		.amdhsa_fp16_overflow 0
		.amdhsa_memory_ordered 1
		.amdhsa_forward_progress 1
		.amdhsa_inst_pref_size 4
		.amdhsa_round_robin_scheduling 0
		.amdhsa_exception_fp_ieee_invalid_op 0
		.amdhsa_exception_fp_denorm_src 0
		.amdhsa_exception_fp_ieee_div_zero 0
		.amdhsa_exception_fp_ieee_overflow 0
		.amdhsa_exception_fp_ieee_underflow 0
		.amdhsa_exception_fp_ieee_inexact 0
		.amdhsa_exception_int_div_zero 0
	.end_amdhsa_kernel
	.section	.text._Z17testOperationsGPUI15HIP_vector_typeIhLj3EES0_IhLj1EEEvPT_S4_i,"axG",@progbits,_Z17testOperationsGPUI15HIP_vector_typeIhLj3EES0_IhLj1EEEvPT_S4_i,comdat
.Lfunc_end34:
	.size	_Z17testOperationsGPUI15HIP_vector_typeIhLj3EES0_IhLj1EEEvPT_S4_i, .Lfunc_end34-_Z17testOperationsGPUI15HIP_vector_typeIhLj3EES0_IhLj1EEEvPT_S4_i
                                        ; -- End function
	.set _Z17testOperationsGPUI15HIP_vector_typeIhLj3EES0_IhLj1EEEvPT_S4_i.num_vgpr, 8
	.set _Z17testOperationsGPUI15HIP_vector_typeIhLj3EES0_IhLj1EEEvPT_S4_i.num_agpr, 0
	.set _Z17testOperationsGPUI15HIP_vector_typeIhLj3EES0_IhLj1EEEvPT_S4_i.numbered_sgpr, 4
	.set _Z17testOperationsGPUI15HIP_vector_typeIhLj3EES0_IhLj1EEEvPT_S4_i.num_named_barrier, 0
	.set _Z17testOperationsGPUI15HIP_vector_typeIhLj3EES0_IhLj1EEEvPT_S4_i.private_seg_size, 0
	.set _Z17testOperationsGPUI15HIP_vector_typeIhLj3EES0_IhLj1EEEvPT_S4_i.uses_vcc, 1
	.set _Z17testOperationsGPUI15HIP_vector_typeIhLj3EES0_IhLj1EEEvPT_S4_i.uses_flat_scratch, 0
	.set _Z17testOperationsGPUI15HIP_vector_typeIhLj3EES0_IhLj1EEEvPT_S4_i.has_dyn_sized_stack, 0
	.set _Z17testOperationsGPUI15HIP_vector_typeIhLj3EES0_IhLj1EEEvPT_S4_i.has_recursion, 0
	.set _Z17testOperationsGPUI15HIP_vector_typeIhLj3EES0_IhLj1EEEvPT_S4_i.has_indirect_call, 0
	.section	.AMDGPU.csdata,"",@progbits
; Kernel info:
; codeLenInByte = 392
; TotalNumSgprs: 6
; NumVgprs: 8
; ScratchSize: 0
; MemoryBound: 0
; FloatMode: 240
; IeeeMode: 1
; LDSByteSize: 0 bytes/workgroup (compile time only)
; SGPRBlocks: 0
; VGPRBlocks: 0
; NumSGPRsForWavesPerEU: 6
; NumVGPRsForWavesPerEU: 8
; NamedBarCnt: 0
; Occupancy: 16
; WaveLimiterHint : 0
; COMPUTE_PGM_RSRC2:SCRATCH_EN: 0
; COMPUTE_PGM_RSRC2:USER_SGPR: 2
; COMPUTE_PGM_RSRC2:TRAP_HANDLER: 0
; COMPUTE_PGM_RSRC2:TGID_X_EN: 1
; COMPUTE_PGM_RSRC2:TGID_Y_EN: 0
; COMPUTE_PGM_RSRC2:TGID_Z_EN: 0
; COMPUTE_PGM_RSRC2:TIDIG_COMP_CNT: 0
	.section	.text._Z17testOperationsGPUI15HIP_vector_typeIhLj4EES0_IhLj1EEEvPT_S4_i,"axG",@progbits,_Z17testOperationsGPUI15HIP_vector_typeIhLj4EES0_IhLj1EEEvPT_S4_i,comdat
	.protected	_Z17testOperationsGPUI15HIP_vector_typeIhLj4EES0_IhLj1EEEvPT_S4_i ; -- Begin function _Z17testOperationsGPUI15HIP_vector_typeIhLj4EES0_IhLj1EEEvPT_S4_i
	.globl	_Z17testOperationsGPUI15HIP_vector_typeIhLj4EES0_IhLj1EEEvPT_S4_i
	.p2align	8
	.type	_Z17testOperationsGPUI15HIP_vector_typeIhLj4EES0_IhLj1EEEvPT_S4_i,@function
_Z17testOperationsGPUI15HIP_vector_typeIhLj4EES0_IhLj1EEEvPT_S4_i: ; @_Z17testOperationsGPUI15HIP_vector_typeIhLj4EES0_IhLj1EEEvPT_S4_i
; %bb.0:
	s_load_b32 s2, s[0:1], 0x10
	s_wait_kmcnt 0x0
	v_cmp_ge_i32_e32 vcc_lo, s2, v0
	s_and_saveexec_b32 s2, vcc_lo
	s_cbranch_execz .LBB35_4
; %bb.1:
	s_load_b128 s[0:3], s[0:1], 0x0
	v_dual_mov_b32 v5, 0 :: v_dual_lshlrev_b32 v4, 2, v0
	s_wait_kmcnt 0x0
	s_clause 0x1
	global_load_u8 v0, v4, s[2:3]
	global_load_u8 v1, v4, s[0:1]
	v_add_nc_u64_e32 v[2:3], s[2:3], v[4:5]
	s_wait_loadcnt 0x0
	v_add_nc_u16 v0, v0, v1
	s_delay_alu instid0(VALU_DEP_1)
	v_add_nc_u16 v0, v0, 1
	s_clause 0x1
	global_store_b8 v4, v0, s[0:1]
	global_load_u8 v6, v4, s[2:3]
	s_wait_xcnt 0x1
	v_add_nc_u64_e32 v[0:1], s[0:1], v[4:5]
	s_wait_loadcnt 0x0
	v_add_nc_u16 v8, v6, 1
	s_clause 0x2
	global_store_b8 v4, v8, s[0:1] offset:1
	global_load_u8 v7, v4, s[2:3] offset:1
	global_store_b8 v4, v8, s[2:3]
	s_wait_loadcnt 0x0
	global_store_b8 v4, v7, s[0:1]
	s_wait_xcnt 0x0
	s_mov_b32 s0, exec_lo
	v_cmpx_ne_u16_e32 0, v7
	s_cbranch_execz .LBB35_3
; %bb.2:
	global_load_u8 v4, v[2:3], off
	v_cvt_f32_ubyte0_e32 v5, v7
	s_delay_alu instid0(VALU_DEP_1)
	v_rcp_iflag_f32_e32 v7, v5
	s_wait_loadcnt 0x0
	v_cvt_f32_ubyte0_e32 v4, v4
	s_delay_alu instid0(TRANS32_DEP_1) | instid1(VALU_DEP_1)
	v_mul_f32_e32 v7, v4, v7
	s_delay_alu instid0(VALU_DEP_1) | instskip(NEXT) | instid1(VALU_DEP_1)
	v_trunc_f32_e32 v7, v7
	v_fma_f32 v4, -v7, v5, v4
	v_cvt_u32_f32_e32 v7, v7
	s_delay_alu instid0(VALU_DEP_2) | instskip(NEXT) | instid1(VALU_DEP_1)
	v_cmp_ge_f32_e64 vcc_lo, |v4|, v5
	v_add_co_ci_u32_e64 v4, null, 0, v7, vcc_lo
	global_store_b8 v[2:3], v4, off
	global_load_u8 v5, v[0:1], off
.LBB35_3:
	s_wait_xcnt 0x0
	s_or_b32 exec_lo, exec_lo, s0
	global_load_u8 v4, v[2:3], off offset:2
	v_lshlrev_b16 v6, 8, v6
	s_wait_loadcnt 0x0
	v_mul_lo_u16 v4, v4, v5
	s_delay_alu instid0(VALU_DEP_1)
	v_bitop3_b16 v5, v4, v6, 0xff bitop3:0xec
	global_store_b16 v[0:1], v5, off
	s_clause 0x1
	global_store_b8 v[2:3], v4, off offset:3
	global_load_u8 v4, v[2:3], off offset:1
	global_load_u8 v5, v[0:1], off offset:3
	s_wait_loadcnt 0x0
	s_wait_xcnt 0x1
	v_sub_nc_u16 v2, v5, v4
	global_store_b8 v[0:1], v2, off offset:3
.LBB35_4:
	s_endpgm
	.section	.rodata,"a",@progbits
	.p2align	6, 0x0
	.amdhsa_kernel _Z17testOperationsGPUI15HIP_vector_typeIhLj4EES0_IhLj1EEEvPT_S4_i
		.amdhsa_group_segment_fixed_size 0
		.amdhsa_private_segment_fixed_size 0
		.amdhsa_kernarg_size 20
		.amdhsa_user_sgpr_count 2
		.amdhsa_user_sgpr_dispatch_ptr 0
		.amdhsa_user_sgpr_queue_ptr 0
		.amdhsa_user_sgpr_kernarg_segment_ptr 1
		.amdhsa_user_sgpr_dispatch_id 0
		.amdhsa_user_sgpr_kernarg_preload_length 0
		.amdhsa_user_sgpr_kernarg_preload_offset 0
		.amdhsa_user_sgpr_private_segment_size 0
		.amdhsa_wavefront_size32 1
		.amdhsa_uses_dynamic_stack 0
		.amdhsa_enable_private_segment 0
		.amdhsa_system_sgpr_workgroup_id_x 1
		.amdhsa_system_sgpr_workgroup_id_y 0
		.amdhsa_system_sgpr_workgroup_id_z 0
		.amdhsa_system_sgpr_workgroup_info 0
		.amdhsa_system_vgpr_workitem_id 0
		.amdhsa_next_free_vgpr 9
		.amdhsa_next_free_sgpr 4
		.amdhsa_named_barrier_count 0
		.amdhsa_reserve_vcc 1
		.amdhsa_float_round_mode_32 0
		.amdhsa_float_round_mode_16_64 0
		.amdhsa_float_denorm_mode_32 3
		.amdhsa_float_denorm_mode_16_64 3
		.amdhsa_fp16_overflow 0
		.amdhsa_memory_ordered 1
		.amdhsa_forward_progress 1
		.amdhsa_inst_pref_size 4
		.amdhsa_round_robin_scheduling 0
		.amdhsa_exception_fp_ieee_invalid_op 0
		.amdhsa_exception_fp_denorm_src 0
		.amdhsa_exception_fp_ieee_div_zero 0
		.amdhsa_exception_fp_ieee_overflow 0
		.amdhsa_exception_fp_ieee_underflow 0
		.amdhsa_exception_fp_ieee_inexact 0
		.amdhsa_exception_int_div_zero 0
	.end_amdhsa_kernel
	.section	.text._Z17testOperationsGPUI15HIP_vector_typeIhLj4EES0_IhLj1EEEvPT_S4_i,"axG",@progbits,_Z17testOperationsGPUI15HIP_vector_typeIhLj4EES0_IhLj1EEEvPT_S4_i,comdat
.Lfunc_end35:
	.size	_Z17testOperationsGPUI15HIP_vector_typeIhLj4EES0_IhLj1EEEvPT_S4_i, .Lfunc_end35-_Z17testOperationsGPUI15HIP_vector_typeIhLj4EES0_IhLj1EEEvPT_S4_i
                                        ; -- End function
	.set _Z17testOperationsGPUI15HIP_vector_typeIhLj4EES0_IhLj1EEEvPT_S4_i.num_vgpr, 9
	.set _Z17testOperationsGPUI15HIP_vector_typeIhLj4EES0_IhLj1EEEvPT_S4_i.num_agpr, 0
	.set _Z17testOperationsGPUI15HIP_vector_typeIhLj4EES0_IhLj1EEEvPT_S4_i.numbered_sgpr, 4
	.set _Z17testOperationsGPUI15HIP_vector_typeIhLj4EES0_IhLj1EEEvPT_S4_i.num_named_barrier, 0
	.set _Z17testOperationsGPUI15HIP_vector_typeIhLj4EES0_IhLj1EEEvPT_S4_i.private_seg_size, 0
	.set _Z17testOperationsGPUI15HIP_vector_typeIhLj4EES0_IhLj1EEEvPT_S4_i.uses_vcc, 1
	.set _Z17testOperationsGPUI15HIP_vector_typeIhLj4EES0_IhLj1EEEvPT_S4_i.uses_flat_scratch, 0
	.set _Z17testOperationsGPUI15HIP_vector_typeIhLj4EES0_IhLj1EEEvPT_S4_i.has_dyn_sized_stack, 0
	.set _Z17testOperationsGPUI15HIP_vector_typeIhLj4EES0_IhLj1EEEvPT_S4_i.has_recursion, 0
	.set _Z17testOperationsGPUI15HIP_vector_typeIhLj4EES0_IhLj1EEEvPT_S4_i.has_indirect_call, 0
	.section	.AMDGPU.csdata,"",@progbits
; Kernel info:
; codeLenInByte = 464
; TotalNumSgprs: 6
; NumVgprs: 9
; ScratchSize: 0
; MemoryBound: 0
; FloatMode: 240
; IeeeMode: 1
; LDSByteSize: 0 bytes/workgroup (compile time only)
; SGPRBlocks: 0
; VGPRBlocks: 0
; NumSGPRsForWavesPerEU: 6
; NumVGPRsForWavesPerEU: 9
; NamedBarCnt: 0
; Occupancy: 16
; WaveLimiterHint : 0
; COMPUTE_PGM_RSRC2:SCRATCH_EN: 0
; COMPUTE_PGM_RSRC2:USER_SGPR: 2
; COMPUTE_PGM_RSRC2:TRAP_HANDLER: 0
; COMPUTE_PGM_RSRC2:TGID_X_EN: 1
; COMPUTE_PGM_RSRC2:TGID_Y_EN: 0
; COMPUTE_PGM_RSRC2:TGID_Z_EN: 0
; COMPUTE_PGM_RSRC2:TIDIG_COMP_CNT: 0
	.section	.text._Z17testOperationsGPUI15HIP_vector_typeImLj1EES1_EvPT_S3_i,"axG",@progbits,_Z17testOperationsGPUI15HIP_vector_typeImLj1EES1_EvPT_S3_i,comdat
	.protected	_Z17testOperationsGPUI15HIP_vector_typeImLj1EES1_EvPT_S3_i ; -- Begin function _Z17testOperationsGPUI15HIP_vector_typeImLj1EES1_EvPT_S3_i
	.globl	_Z17testOperationsGPUI15HIP_vector_typeImLj1EES1_EvPT_S3_i
	.p2align	8
	.type	_Z17testOperationsGPUI15HIP_vector_typeImLj1EES1_EvPT_S3_i,@function
_Z17testOperationsGPUI15HIP_vector_typeImLj1EES1_EvPT_S3_i: ; @_Z17testOperationsGPUI15HIP_vector_typeImLj1EES1_EvPT_S3_i
; %bb.0:
	s_load_b32 s2, s[0:1], 0x10
	s_wait_kmcnt 0x0
	v_cmp_ge_i32_e32 vcc_lo, s2, v0
	s_and_saveexec_b32 s2, vcc_lo
	s_cbranch_execz .LBB36_2
; %bb.1:
	s_load_b128 s[0:3], s[0:1], 0x0
	s_wait_kmcnt 0x0
	s_clause 0x1
	global_load_b64 v[2:3], v0, s[2:3] scale_offset
	global_load_b64 v[4:5], v0, s[0:1] scale_offset
	s_wait_loadcnt 0x0
	v_add_nc_u64_e32 v[2:3], v[2:3], v[4:5]
	s_delay_alu instid0(VALU_DEP_1)
	v_add_nc_u64_e32 v[2:3], 1, v[2:3]
	s_clause 0x1
	global_store_b64 v0, v[2:3], s[0:1] scale_offset
	global_load_b64 v[2:3], v0, s[2:3] scale_offset
	s_wait_loadcnt 0x0
	v_add_nc_u64_e32 v[2:3], 1, v[2:3]
	global_store_b64 v0, v[2:3], s[2:3] scale_offset
.LBB36_2:
	s_endpgm
	.section	.rodata,"a",@progbits
	.p2align	6, 0x0
	.amdhsa_kernel _Z17testOperationsGPUI15HIP_vector_typeImLj1EES1_EvPT_S3_i
		.amdhsa_group_segment_fixed_size 0
		.amdhsa_private_segment_fixed_size 0
		.amdhsa_kernarg_size 20
		.amdhsa_user_sgpr_count 2
		.amdhsa_user_sgpr_dispatch_ptr 0
		.amdhsa_user_sgpr_queue_ptr 0
		.amdhsa_user_sgpr_kernarg_segment_ptr 1
		.amdhsa_user_sgpr_dispatch_id 0
		.amdhsa_user_sgpr_kernarg_preload_length 0
		.amdhsa_user_sgpr_kernarg_preload_offset 0
		.amdhsa_user_sgpr_private_segment_size 0
		.amdhsa_wavefront_size32 1
		.amdhsa_uses_dynamic_stack 0
		.amdhsa_enable_private_segment 0
		.amdhsa_system_sgpr_workgroup_id_x 1
		.amdhsa_system_sgpr_workgroup_id_y 0
		.amdhsa_system_sgpr_workgroup_id_z 0
		.amdhsa_system_sgpr_workgroup_info 0
		.amdhsa_system_vgpr_workitem_id 0
		.amdhsa_next_free_vgpr 6
		.amdhsa_next_free_sgpr 4
		.amdhsa_named_barrier_count 0
		.amdhsa_reserve_vcc 1
		.amdhsa_float_round_mode_32 0
		.amdhsa_float_round_mode_16_64 0
		.amdhsa_float_denorm_mode_32 3
		.amdhsa_float_denorm_mode_16_64 3
		.amdhsa_fp16_overflow 0
		.amdhsa_memory_ordered 1
		.amdhsa_forward_progress 1
		.amdhsa_inst_pref_size 2
		.amdhsa_round_robin_scheduling 0
		.amdhsa_exception_fp_ieee_invalid_op 0
		.amdhsa_exception_fp_denorm_src 0
		.amdhsa_exception_fp_ieee_div_zero 0
		.amdhsa_exception_fp_ieee_overflow 0
		.amdhsa_exception_fp_ieee_underflow 0
		.amdhsa_exception_fp_ieee_inexact 0
		.amdhsa_exception_int_div_zero 0
	.end_amdhsa_kernel
	.section	.text._Z17testOperationsGPUI15HIP_vector_typeImLj1EES1_EvPT_S3_i,"axG",@progbits,_Z17testOperationsGPUI15HIP_vector_typeImLj1EES1_EvPT_S3_i,comdat
.Lfunc_end36:
	.size	_Z17testOperationsGPUI15HIP_vector_typeImLj1EES1_EvPT_S3_i, .Lfunc_end36-_Z17testOperationsGPUI15HIP_vector_typeImLj1EES1_EvPT_S3_i
                                        ; -- End function
	.set _Z17testOperationsGPUI15HIP_vector_typeImLj1EES1_EvPT_S3_i.num_vgpr, 6
	.set _Z17testOperationsGPUI15HIP_vector_typeImLj1EES1_EvPT_S3_i.num_agpr, 0
	.set _Z17testOperationsGPUI15HIP_vector_typeImLj1EES1_EvPT_S3_i.numbered_sgpr, 4
	.set _Z17testOperationsGPUI15HIP_vector_typeImLj1EES1_EvPT_S3_i.num_named_barrier, 0
	.set _Z17testOperationsGPUI15HIP_vector_typeImLj1EES1_EvPT_S3_i.private_seg_size, 0
	.set _Z17testOperationsGPUI15HIP_vector_typeImLj1EES1_EvPT_S3_i.uses_vcc, 1
	.set _Z17testOperationsGPUI15HIP_vector_typeImLj1EES1_EvPT_S3_i.uses_flat_scratch, 0
	.set _Z17testOperationsGPUI15HIP_vector_typeImLj1EES1_EvPT_S3_i.has_dyn_sized_stack, 0
	.set _Z17testOperationsGPUI15HIP_vector_typeImLj1EES1_EvPT_S3_i.has_recursion, 0
	.set _Z17testOperationsGPUI15HIP_vector_typeImLj1EES1_EvPT_S3_i.has_indirect_call, 0
	.section	.AMDGPU.csdata,"",@progbits
; Kernel info:
; codeLenInByte = 132
; TotalNumSgprs: 6
; NumVgprs: 6
; ScratchSize: 0
; MemoryBound: 0
; FloatMode: 240
; IeeeMode: 1
; LDSByteSize: 0 bytes/workgroup (compile time only)
; SGPRBlocks: 0
; VGPRBlocks: 0
; NumSGPRsForWavesPerEU: 6
; NumVGPRsForWavesPerEU: 6
; NamedBarCnt: 0
; Occupancy: 16
; WaveLimiterHint : 0
; COMPUTE_PGM_RSRC2:SCRATCH_EN: 0
; COMPUTE_PGM_RSRC2:USER_SGPR: 2
; COMPUTE_PGM_RSRC2:TRAP_HANDLER: 0
; COMPUTE_PGM_RSRC2:TGID_X_EN: 1
; COMPUTE_PGM_RSRC2:TGID_Y_EN: 0
; COMPUTE_PGM_RSRC2:TGID_Z_EN: 0
; COMPUTE_PGM_RSRC2:TIDIG_COMP_CNT: 0
	.section	.text._Z17testOperationsGPUI15HIP_vector_typeImLj2EES0_ImLj1EEEvPT_S4_i,"axG",@progbits,_Z17testOperationsGPUI15HIP_vector_typeImLj2EES0_ImLj1EEEvPT_S4_i,comdat
	.protected	_Z17testOperationsGPUI15HIP_vector_typeImLj2EES0_ImLj1EEEvPT_S4_i ; -- Begin function _Z17testOperationsGPUI15HIP_vector_typeImLj2EES0_ImLj1EEEvPT_S4_i
	.globl	_Z17testOperationsGPUI15HIP_vector_typeImLj2EES0_ImLj1EEEvPT_S4_i
	.p2align	8
	.type	_Z17testOperationsGPUI15HIP_vector_typeImLj2EES0_ImLj1EEEvPT_S4_i,@function
_Z17testOperationsGPUI15HIP_vector_typeImLj2EES0_ImLj1EEEvPT_S4_i: ; @_Z17testOperationsGPUI15HIP_vector_typeImLj2EES0_ImLj1EEEvPT_S4_i
; %bb.0:
	s_load_b32 s2, s[0:1], 0x10
	s_wait_kmcnt 0x0
	v_cmp_ge_i32_e32 vcc_lo, s2, v0
	s_and_saveexec_b32 s2, vcc_lo
	s_cbranch_execz .LBB37_2
; %bb.1:
	s_load_b128 s[0:3], s[0:1], 0x0
	v_lshlrev_b32_e32 v4, 4, v0
	s_wait_kmcnt 0x0
	s_clause 0x1
	global_load_b64 v[0:1], v4, s[2:3]
	global_load_b64 v[2:3], v4, s[0:1]
	s_wait_loadcnt 0x0
	v_add_nc_u64_e32 v[0:1], v[0:1], v[2:3]
	s_delay_alu instid0(VALU_DEP_1)
	v_add_nc_u64_e32 v[0:1], 1, v[0:1]
	s_clause 0x1
	global_store_b64 v4, v[0:1], s[0:1]
	global_load_b64 v[0:1], v4, s[2:3]
	s_wait_loadcnt 0x0
	v_add_nc_u64_e32 v[0:1], 1, v[0:1]
	s_clause 0x2
	global_store_b64 v4, v[0:1], s[0:1] offset:8
	global_load_b64 v[2:3], v4, s[2:3] offset:8
	global_store_b64 v4, v[0:1], s[2:3]
	s_wait_loadcnt 0x0
	global_store_b64 v4, v[2:3], s[0:1]
.LBB37_2:
	s_endpgm
	.section	.rodata,"a",@progbits
	.p2align	6, 0x0
	.amdhsa_kernel _Z17testOperationsGPUI15HIP_vector_typeImLj2EES0_ImLj1EEEvPT_S4_i
		.amdhsa_group_segment_fixed_size 0
		.amdhsa_private_segment_fixed_size 0
		.amdhsa_kernarg_size 20
		.amdhsa_user_sgpr_count 2
		.amdhsa_user_sgpr_dispatch_ptr 0
		.amdhsa_user_sgpr_queue_ptr 0
		.amdhsa_user_sgpr_kernarg_segment_ptr 1
		.amdhsa_user_sgpr_dispatch_id 0
		.amdhsa_user_sgpr_kernarg_preload_length 0
		.amdhsa_user_sgpr_kernarg_preload_offset 0
		.amdhsa_user_sgpr_private_segment_size 0
		.amdhsa_wavefront_size32 1
		.amdhsa_uses_dynamic_stack 0
		.amdhsa_enable_private_segment 0
		.amdhsa_system_sgpr_workgroup_id_x 1
		.amdhsa_system_sgpr_workgroup_id_y 0
		.amdhsa_system_sgpr_workgroup_id_z 0
		.amdhsa_system_sgpr_workgroup_info 0
		.amdhsa_system_vgpr_workitem_id 0
		.amdhsa_next_free_vgpr 5
		.amdhsa_next_free_sgpr 4
		.amdhsa_named_barrier_count 0
		.amdhsa_reserve_vcc 1
		.amdhsa_float_round_mode_32 0
		.amdhsa_float_round_mode_16_64 0
		.amdhsa_float_denorm_mode_32 3
		.amdhsa_float_denorm_mode_16_64 3
		.amdhsa_fp16_overflow 0
		.amdhsa_memory_ordered 1
		.amdhsa_forward_progress 1
		.amdhsa_inst_pref_size 2
		.amdhsa_round_robin_scheduling 0
		.amdhsa_exception_fp_ieee_invalid_op 0
		.amdhsa_exception_fp_denorm_src 0
		.amdhsa_exception_fp_ieee_div_zero 0
		.amdhsa_exception_fp_ieee_overflow 0
		.amdhsa_exception_fp_ieee_underflow 0
		.amdhsa_exception_fp_ieee_inexact 0
		.amdhsa_exception_int_div_zero 0
	.end_amdhsa_kernel
	.section	.text._Z17testOperationsGPUI15HIP_vector_typeImLj2EES0_ImLj1EEEvPT_S4_i,"axG",@progbits,_Z17testOperationsGPUI15HIP_vector_typeImLj2EES0_ImLj1EEEvPT_S4_i,comdat
.Lfunc_end37:
	.size	_Z17testOperationsGPUI15HIP_vector_typeImLj2EES0_ImLj1EEEvPT_S4_i, .Lfunc_end37-_Z17testOperationsGPUI15HIP_vector_typeImLj2EES0_ImLj1EEEvPT_S4_i
                                        ; -- End function
	.set _Z17testOperationsGPUI15HIP_vector_typeImLj2EES0_ImLj1EEEvPT_S4_i.num_vgpr, 5
	.set _Z17testOperationsGPUI15HIP_vector_typeImLj2EES0_ImLj1EEEvPT_S4_i.num_agpr, 0
	.set _Z17testOperationsGPUI15HIP_vector_typeImLj2EES0_ImLj1EEEvPT_S4_i.numbered_sgpr, 4
	.set _Z17testOperationsGPUI15HIP_vector_typeImLj2EES0_ImLj1EEEvPT_S4_i.num_named_barrier, 0
	.set _Z17testOperationsGPUI15HIP_vector_typeImLj2EES0_ImLj1EEEvPT_S4_i.private_seg_size, 0
	.set _Z17testOperationsGPUI15HIP_vector_typeImLj2EES0_ImLj1EEEvPT_S4_i.uses_vcc, 1
	.set _Z17testOperationsGPUI15HIP_vector_typeImLj2EES0_ImLj1EEEvPT_S4_i.uses_flat_scratch, 0
	.set _Z17testOperationsGPUI15HIP_vector_typeImLj2EES0_ImLj1EEEvPT_S4_i.has_dyn_sized_stack, 0
	.set _Z17testOperationsGPUI15HIP_vector_typeImLj2EES0_ImLj1EEEvPT_S4_i.has_recursion, 0
	.set _Z17testOperationsGPUI15HIP_vector_typeImLj2EES0_ImLj1EEEvPT_S4_i.has_indirect_call, 0
	.section	.AMDGPU.csdata,"",@progbits
; Kernel info:
; codeLenInByte = 180
; TotalNumSgprs: 6
; NumVgprs: 5
; ScratchSize: 0
; MemoryBound: 1
; FloatMode: 240
; IeeeMode: 1
; LDSByteSize: 0 bytes/workgroup (compile time only)
; SGPRBlocks: 0
; VGPRBlocks: 0
; NumSGPRsForWavesPerEU: 6
; NumVGPRsForWavesPerEU: 5
; NamedBarCnt: 0
; Occupancy: 16
; WaveLimiterHint : 1
; COMPUTE_PGM_RSRC2:SCRATCH_EN: 0
; COMPUTE_PGM_RSRC2:USER_SGPR: 2
; COMPUTE_PGM_RSRC2:TRAP_HANDLER: 0
; COMPUTE_PGM_RSRC2:TGID_X_EN: 1
; COMPUTE_PGM_RSRC2:TGID_Y_EN: 0
; COMPUTE_PGM_RSRC2:TGID_Z_EN: 0
; COMPUTE_PGM_RSRC2:TIDIG_COMP_CNT: 0
	.section	.text._Z17testOperationsGPUI15HIP_vector_typeImLj3EES0_ImLj1EEEvPT_S4_i,"axG",@progbits,_Z17testOperationsGPUI15HIP_vector_typeImLj3EES0_ImLj1EEEvPT_S4_i,comdat
	.protected	_Z17testOperationsGPUI15HIP_vector_typeImLj3EES0_ImLj1EEEvPT_S4_i ; -- Begin function _Z17testOperationsGPUI15HIP_vector_typeImLj3EES0_ImLj1EEEvPT_S4_i
	.globl	_Z17testOperationsGPUI15HIP_vector_typeImLj3EES0_ImLj1EEEvPT_S4_i
	.p2align	8
	.type	_Z17testOperationsGPUI15HIP_vector_typeImLj3EES0_ImLj1EEEvPT_S4_i,@function
_Z17testOperationsGPUI15HIP_vector_typeImLj3EES0_ImLj1EEEvPT_S4_i: ; @_Z17testOperationsGPUI15HIP_vector_typeImLj3EES0_ImLj1EEEvPT_S4_i
; %bb.0:
	s_load_b32 s2, s[0:1], 0x10
	s_wait_kmcnt 0x0
	v_cmp_ge_i32_e32 vcc_lo, s2, v0
	s_and_saveexec_b32 s2, vcc_lo
	s_cbranch_execz .LBB38_8
; %bb.1:
	s_load_b128 s[0:3], s[0:1], 0x0
	v_mov_b64_e32 v[8:9], 0
	s_wait_kmcnt 0x0
	v_mad_nc_u64_u32 v[6:7], v0, 24, s[2:3]
	v_mad_nc_u64_u32 v[4:5], v0, 24, s[0:1]
	s_mov_b32 s1, exec_lo
	global_load_b64 v[0:1], v[6:7], off
	global_load_b64 v[2:3], v[4:5], off
	s_wait_loadcnt 0x0
	v_add_nc_u64_e32 v[0:1], v[0:1], v[2:3]
	s_delay_alu instid0(VALU_DEP_1)
	v_add_nc_u64_e32 v[0:1], 1, v[0:1]
	global_store_b64 v[4:5], v[0:1], off
	global_load_b64 v[2:3], v[6:7], off
	s_wait_loadcnt 0x0
	v_add_nc_u64_e32 v[10:11], 1, v[2:3]
	global_store_b64 v[4:5], v[10:11], off offset:8
	s_clause 0x1
	global_load_b64 v[0:1], v[6:7], off offset:8
	global_store_b64 v[6:7], v[10:11], off
	s_wait_loadcnt 0x0
	global_store_b64 v[4:5], v[0:1], off
	s_wait_xcnt 0x0
	v_cmpx_ne_u64_e32 0, v[0:1]
	s_cbranch_execz .LBB38_7
; %bb.2:
	global_load_b64 v[8:9], v[6:7], off
                                        ; implicit-def: $vgpr12_vgpr13
	s_mov_b32 s0, exec_lo
	s_wait_loadcnt 0x0
	v_dual_mov_b32 v10, 0 :: v_dual_bitop2_b32 v11, v9, v1 bitop3:0x54
	s_wait_xcnt 0x0
	s_delay_alu instid0(VALU_DEP_1)
	v_cmpx_ne_u64_e32 0, v[10:11]
	s_xor_b32 s2, exec_lo, s0
	s_cbranch_execz .LBB38_4
; %bb.3:
	v_cvt_f32_u32_e32 v11, v0
	v_cvt_f32_u32_e32 v12, v1
	v_sub_nc_u64_e32 v[14:15], 0, v[0:1]
	v_dual_mov_b32 v21, v10 :: v_dual_mov_b32 v23, v10
	s_delay_alu instid0(VALU_DEP_3) | instskip(NEXT) | instid1(VALU_DEP_1)
	v_fmamk_f32 v11, v12, 0x4f800000, v11
	v_rcp_f32_e32 v11, v11
	v_nop
	s_delay_alu instid0(TRANS32_DEP_1) | instskip(NEXT) | instid1(VALU_DEP_1)
	v_mul_f32_e32 v11, 0x5f7ffffc, v11
	v_mul_f32_e32 v12, 0x2f800000, v11
	s_delay_alu instid0(VALU_DEP_1) | instskip(NEXT) | instid1(VALU_DEP_1)
	v_trunc_f32_e32 v13, v12
	v_fmamk_f32 v11, v13, 0xcf800000, v11
	v_cvt_u32_f32_e32 v17, v13
	v_mov_b32_e32 v13, v10
	s_delay_alu instid0(VALU_DEP_3) | instskip(NEXT) | instid1(VALU_DEP_1)
	v_cvt_u32_f32_e32 v12, v11
	v_dual_mov_b32 v22, v17 :: v_dual_mov_b32 v16, v12
	s_delay_alu instid0(VALU_DEP_1) | instskip(NEXT) | instid1(VALU_DEP_1)
	v_mul_u64_e32 v[18:19], v[14:15], v[16:17]
	v_dual_mov_b32 v20, v19 :: v_dual_mov_b32 v19, v10
	s_delay_alu instid0(VALU_DEP_1) | instskip(NEXT) | instid1(VALU_DEP_2)
	v_mul_u64_e32 v[24:25], v[12:13], v[20:21]
	v_mul_u64_e32 v[26:27], v[22:23], v[18:19]
	;; [unrolled: 1-line block ×3, first 2 shown]
	v_mul_hi_u32 v18, v12, v18
	s_delay_alu instid0(VALU_DEP_1) | instskip(NEXT) | instid1(VALU_DEP_1)
	v_add_nc_u64_e32 v[18:19], v[18:19], v[24:25]
	v_add_co_u32 v11, vcc_lo, v18, v26
	s_delay_alu instid0(VALU_DEP_2) | instskip(SKIP_1) | instid1(VALU_DEP_1)
	v_add_co_ci_u32_e32 v22, vcc_lo, v19, v27, vcc_lo
	v_add_co_ci_u32_e32 v21, vcc_lo, 0, v21, vcc_lo
	v_add_nc_u64_e32 v[18:19], v[22:23], v[20:21]
	s_delay_alu instid0(VALU_DEP_1) | instskip(NEXT) | instid1(VALU_DEP_1)
	v_add_co_u32 v12, vcc_lo, v12, v18
	v_add_co_ci_u32_e64 v16, null, v17, v19, vcc_lo
	v_dual_mov_b32 v19, v10 :: v_dual_mov_b32 v17, v10
	s_delay_alu instid0(VALU_DEP_2) | instskip(NEXT) | instid1(VALU_DEP_1)
	v_mov_b32_e32 v13, v16
	v_mul_u64_e32 v[14:15], v[14:15], v[12:13]
	s_delay_alu instid0(VALU_DEP_1) | instskip(NEXT) | instid1(VALU_DEP_2)
	v_dual_mov_b32 v13, v10 :: v_dual_mov_b32 v18, v15
	v_dual_mov_b32 v22, v14 :: v_dual_mov_b32 v15, v10
	v_mul_hi_u32 v14, v12, v14
	s_delay_alu instid0(VALU_DEP_3) | instskip(NEXT) | instid1(VALU_DEP_3)
	v_mul_u64_e32 v[20:21], v[12:13], v[18:19]
	v_mul_u64_e32 v[22:23], v[16:17], v[22:23]
	;; [unrolled: 1-line block ×3, first 2 shown]
	s_delay_alu instid0(VALU_DEP_3) | instskip(SKIP_1) | instid1(VALU_DEP_2)
	v_add_nc_u64_e32 v[14:15], v[14:15], v[20:21]
	v_mov_b32_e32 v21, v10
	v_add_co_u32 v11, vcc_lo, v14, v22
	s_delay_alu instid0(VALU_DEP_3) | instskip(SKIP_2) | instid1(VALU_DEP_2)
	v_add_co_ci_u32_e32 v20, vcc_lo, v15, v23, vcc_lo
	v_add_co_ci_u32_e32 v19, vcc_lo, 0, v19, vcc_lo
	v_mov_b32_e32 v11, v10
	v_add_nc_u64_e32 v[14:15], v[20:21], v[18:19]
	v_dual_mov_b32 v18, v8 :: v_dual_mov_b32 v19, v10
	s_delay_alu instid0(VALU_DEP_2) | instskip(NEXT) | instid1(VALU_DEP_1)
	v_add_co_u32 v14, vcc_lo, v12, v14
	v_add_co_ci_u32_e64 v12, null, v16, v15, vcc_lo
	v_dual_mov_b32 v16, v9 :: v_dual_mov_b32 v15, v10
	s_delay_alu instid0(VALU_DEP_2) | instskip(NEXT) | instid1(VALU_DEP_2)
	v_mul_u64_e32 v[18:19], v[18:19], v[12:13]
	v_mul_u64_e32 v[12:13], v[16:17], v[12:13]
	s_delay_alu instid0(VALU_DEP_3) | instskip(SKIP_1) | instid1(VALU_DEP_1)
	v_mul_u64_e32 v[20:21], v[16:17], v[14:15]
	v_mul_hi_u32 v14, v8, v14
	v_add_nc_u64_e32 v[14:15], v[14:15], v[18:19]
	s_delay_alu instid0(VALU_DEP_1) | instskip(NEXT) | instid1(VALU_DEP_2)
	v_add_co_u32 v10, vcc_lo, v14, v20
	v_add_co_ci_u32_e32 v10, vcc_lo, v15, v21, vcc_lo
	v_add_co_ci_u32_e32 v13, vcc_lo, 0, v13, vcc_lo
	s_delay_alu instid0(VALU_DEP_1) | instskip(NEXT) | instid1(VALU_DEP_1)
	v_add_nc_u64_e32 v[10:11], v[10:11], v[12:13]
	v_mul_u64_e32 v[12:13], v[0:1], v[10:11]
	s_delay_alu instid0(VALU_DEP_1) | instskip(NEXT) | instid1(VALU_DEP_2)
	v_sub_nc_u32_e32 v14, v9, v13
	v_sub_co_u32 v8, vcc_lo, v8, v12
	s_delay_alu instid0(VALU_DEP_1) | instskip(NEXT) | instid1(VALU_DEP_3)
	v_sub_co_ci_u32_e64 v13, null, v9, v13, vcc_lo
	v_sub_co_ci_u32_e64 v12, null, v14, v1, vcc_lo
	s_delay_alu instid0(VALU_DEP_3) | instskip(SKIP_1) | instid1(VALU_DEP_3)
	v_sub_co_u32 v16, s0, v8, v0
	v_cmp_ge_u32_e32 vcc_lo, v8, v0
	v_subrev_co_ci_u32_e64 v12, null, 0, v12, s0
	s_delay_alu instid0(VALU_DEP_3) | instskip(SKIP_2) | instid1(VALU_DEP_4)
	v_cmp_ge_u32_e64 s0, v16, v0
	v_add_nc_u64_e32 v[14:15], 2, v[10:11]
	v_cndmask_b32_e64 v0, 0, -1, vcc_lo
	v_cmp_eq_u32_e32 vcc_lo, v12, v1
	v_add_nc_u64_e32 v[8:9], 1, v[10:11]
	v_cndmask_b32_e64 v16, 0, -1, s0
	v_cmp_ge_u32_e64 s0, v12, v1
	s_delay_alu instid0(VALU_DEP_1) | instskip(SKIP_1) | instid1(VALU_DEP_2)
	v_cndmask_b32_e64 v17, 0, -1, s0
	v_cmp_eq_u32_e64 s0, v13, v1
	v_cndmask_b32_e32 v12, v17, v16, vcc_lo
	v_cmp_ge_u32_e32 vcc_lo, v13, v1
	v_cndmask_b32_e64 v16, 0, -1, vcc_lo
	s_delay_alu instid0(VALU_DEP_3) | instskip(NEXT) | instid1(VALU_DEP_2)
	v_cmp_ne_u32_e32 vcc_lo, 0, v12
	v_cndmask_b32_e64 v0, v16, v0, s0
	v_dual_cndmask_b32 v8, v8, v14 :: v_dual_cndmask_b32 v1, v9, v15
	s_delay_alu instid0(VALU_DEP_2) | instskip(NEXT) | instid1(VALU_DEP_2)
	v_cmp_ne_u32_e32 vcc_lo, 0, v0
	v_dual_cndmask_b32 v12, v10, v8 :: v_dual_cndmask_b32 v13, v11, v1
                                        ; implicit-def: $vgpr0_vgpr1
                                        ; implicit-def: $vgpr8_vgpr9
.LBB38_4:
	s_and_not1_saveexec_b32 s0, s2
	s_cbranch_execz .LBB38_6
; %bb.5:
	v_cvt_f32_u32_e32 v1, v0
	v_dual_sub_nc_u32 v9, 0, v0 :: v_dual_mov_b32 v13, 0
	s_delay_alu instid0(VALU_DEP_2) | instskip(SKIP_1) | instid1(TRANS32_DEP_1)
	v_rcp_iflag_f32_e32 v1, v1
	v_nop
	v_mul_f32_e32 v1, 0x4f7ffffe, v1
	s_delay_alu instid0(VALU_DEP_1) | instskip(NEXT) | instid1(VALU_DEP_1)
	v_cvt_u32_f32_e32 v1, v1
	v_mul_lo_u32 v9, v9, v1
	s_delay_alu instid0(VALU_DEP_1) | instskip(NEXT) | instid1(VALU_DEP_1)
	v_mul_hi_u32 v9, v1, v9
	v_add_nc_u32_e32 v1, v1, v9
	s_delay_alu instid0(VALU_DEP_1) | instskip(NEXT) | instid1(VALU_DEP_1)
	v_mul_hi_u32 v1, v8, v1
	v_mul_lo_u32 v9, v1, v0
	s_delay_alu instid0(VALU_DEP_1) | instskip(NEXT) | instid1(VALU_DEP_1)
	v_sub_nc_u32_e32 v8, v8, v9
	v_dual_add_nc_u32 v9, 1, v1 :: v_dual_sub_nc_u32 v10, v8, v0
	v_cmp_ge_u32_e32 vcc_lo, v8, v0
	s_delay_alu instid0(VALU_DEP_2) | instskip(NEXT) | instid1(VALU_DEP_1)
	v_dual_cndmask_b32 v8, v8, v10 :: v_dual_cndmask_b32 v1, v1, v9
	v_cmp_ge_u32_e32 vcc_lo, v8, v0
	s_delay_alu instid0(VALU_DEP_2) | instskip(NEXT) | instid1(VALU_DEP_1)
	v_add_nc_u32_e32 v9, 1, v1
	v_cndmask_b32_e32 v12, v1, v9, vcc_lo
.LBB38_6:
	s_or_b32 exec_lo, exec_lo, s0
	global_store_b64 v[6:7], v[12:13], off
	global_load_b64 v[8:9], v[4:5], off
.LBB38_7:
	s_wait_xcnt 0x0
	s_or_b32 exec_lo, exec_lo, s1
	global_load_b64 v[0:1], v[6:7], off offset:16
	s_wait_loadcnt 0x0
	v_mul_u64_e32 v[0:1], v[0:1], v[8:9]
	global_store_b128 v[4:5], v[0:3], off
.LBB38_8:
	s_endpgm
	.section	.rodata,"a",@progbits
	.p2align	6, 0x0
	.amdhsa_kernel _Z17testOperationsGPUI15HIP_vector_typeImLj3EES0_ImLj1EEEvPT_S4_i
		.amdhsa_group_segment_fixed_size 0
		.amdhsa_private_segment_fixed_size 0
		.amdhsa_kernarg_size 20
		.amdhsa_user_sgpr_count 2
		.amdhsa_user_sgpr_dispatch_ptr 0
		.amdhsa_user_sgpr_queue_ptr 0
		.amdhsa_user_sgpr_kernarg_segment_ptr 1
		.amdhsa_user_sgpr_dispatch_id 0
		.amdhsa_user_sgpr_kernarg_preload_length 0
		.amdhsa_user_sgpr_kernarg_preload_offset 0
		.amdhsa_user_sgpr_private_segment_size 0
		.amdhsa_wavefront_size32 1
		.amdhsa_uses_dynamic_stack 0
		.amdhsa_enable_private_segment 0
		.amdhsa_system_sgpr_workgroup_id_x 1
		.amdhsa_system_sgpr_workgroup_id_y 0
		.amdhsa_system_sgpr_workgroup_id_z 0
		.amdhsa_system_sgpr_workgroup_info 0
		.amdhsa_system_vgpr_workitem_id 0
		.amdhsa_next_free_vgpr 28
		.amdhsa_next_free_sgpr 4
		.amdhsa_named_barrier_count 0
		.amdhsa_reserve_vcc 1
		.amdhsa_float_round_mode_32 0
		.amdhsa_float_round_mode_16_64 0
		.amdhsa_float_denorm_mode_32 3
		.amdhsa_float_denorm_mode_16_64 3
		.amdhsa_fp16_overflow 0
		.amdhsa_memory_ordered 1
		.amdhsa_forward_progress 1
		.amdhsa_inst_pref_size 9
		.amdhsa_round_robin_scheduling 0
		.amdhsa_exception_fp_ieee_invalid_op 0
		.amdhsa_exception_fp_denorm_src 0
		.amdhsa_exception_fp_ieee_div_zero 0
		.amdhsa_exception_fp_ieee_overflow 0
		.amdhsa_exception_fp_ieee_underflow 0
		.amdhsa_exception_fp_ieee_inexact 0
		.amdhsa_exception_int_div_zero 0
	.end_amdhsa_kernel
	.section	.text._Z17testOperationsGPUI15HIP_vector_typeImLj3EES0_ImLj1EEEvPT_S4_i,"axG",@progbits,_Z17testOperationsGPUI15HIP_vector_typeImLj3EES0_ImLj1EEEvPT_S4_i,comdat
.Lfunc_end38:
	.size	_Z17testOperationsGPUI15HIP_vector_typeImLj3EES0_ImLj1EEEvPT_S4_i, .Lfunc_end38-_Z17testOperationsGPUI15HIP_vector_typeImLj3EES0_ImLj1EEEvPT_S4_i
                                        ; -- End function
	.set _Z17testOperationsGPUI15HIP_vector_typeImLj3EES0_ImLj1EEEvPT_S4_i.num_vgpr, 28
	.set _Z17testOperationsGPUI15HIP_vector_typeImLj3EES0_ImLj1EEEvPT_S4_i.num_agpr, 0
	.set _Z17testOperationsGPUI15HIP_vector_typeImLj3EES0_ImLj1EEEvPT_S4_i.numbered_sgpr, 4
	.set _Z17testOperationsGPUI15HIP_vector_typeImLj3EES0_ImLj1EEEvPT_S4_i.num_named_barrier, 0
	.set _Z17testOperationsGPUI15HIP_vector_typeImLj3EES0_ImLj1EEEvPT_S4_i.private_seg_size, 0
	.set _Z17testOperationsGPUI15HIP_vector_typeImLj3EES0_ImLj1EEEvPT_S4_i.uses_vcc, 1
	.set _Z17testOperationsGPUI15HIP_vector_typeImLj3EES0_ImLj1EEEvPT_S4_i.uses_flat_scratch, 0
	.set _Z17testOperationsGPUI15HIP_vector_typeImLj3EES0_ImLj1EEEvPT_S4_i.has_dyn_sized_stack, 0
	.set _Z17testOperationsGPUI15HIP_vector_typeImLj3EES0_ImLj1EEEvPT_S4_i.has_recursion, 0
	.set _Z17testOperationsGPUI15HIP_vector_typeImLj3EES0_ImLj1EEEvPT_S4_i.has_indirect_call, 0
	.section	.AMDGPU.csdata,"",@progbits
; Kernel info:
; codeLenInByte = 1064
; TotalNumSgprs: 6
; NumVgprs: 28
; ScratchSize: 0
; MemoryBound: 0
; FloatMode: 240
; IeeeMode: 1
; LDSByteSize: 0 bytes/workgroup (compile time only)
; SGPRBlocks: 0
; VGPRBlocks: 1
; NumSGPRsForWavesPerEU: 6
; NumVGPRsForWavesPerEU: 28
; NamedBarCnt: 0
; Occupancy: 16
; WaveLimiterHint : 0
; COMPUTE_PGM_RSRC2:SCRATCH_EN: 0
; COMPUTE_PGM_RSRC2:USER_SGPR: 2
; COMPUTE_PGM_RSRC2:TRAP_HANDLER: 0
; COMPUTE_PGM_RSRC2:TGID_X_EN: 1
; COMPUTE_PGM_RSRC2:TGID_Y_EN: 0
; COMPUTE_PGM_RSRC2:TGID_Z_EN: 0
; COMPUTE_PGM_RSRC2:TIDIG_COMP_CNT: 0
	.section	.text._Z17testOperationsGPUI15HIP_vector_typeImLj4EES0_ImLj1EEEvPT_S4_i,"axG",@progbits,_Z17testOperationsGPUI15HIP_vector_typeImLj4EES0_ImLj1EEEvPT_S4_i,comdat
	.protected	_Z17testOperationsGPUI15HIP_vector_typeImLj4EES0_ImLj1EEEvPT_S4_i ; -- Begin function _Z17testOperationsGPUI15HIP_vector_typeImLj4EES0_ImLj1EEEvPT_S4_i
	.globl	_Z17testOperationsGPUI15HIP_vector_typeImLj4EES0_ImLj1EEEvPT_S4_i
	.p2align	8
	.type	_Z17testOperationsGPUI15HIP_vector_typeImLj4EES0_ImLj1EEEvPT_S4_i,@function
_Z17testOperationsGPUI15HIP_vector_typeImLj4EES0_ImLj1EEEvPT_S4_i: ; @_Z17testOperationsGPUI15HIP_vector_typeImLj4EES0_ImLj1EEEvPT_S4_i
; %bb.0:
	s_load_b32 s2, s[0:1], 0x10
	s_wait_kmcnt 0x0
	v_cmp_ge_i32_e32 vcc_lo, s2, v0
	s_and_saveexec_b32 s2, vcc_lo
	s_cbranch_execz .LBB39_8
; %bb.1:
	s_load_b128 s[0:3], s[0:1], 0x0
	v_dual_mov_b32 v11, 0 :: v_dual_lshlrev_b32 v10, 5, v0
	v_mov_b64_e32 v[8:9], 0
	s_wait_kmcnt 0x0
	s_clause 0x1
	global_load_b64 v[0:1], v10, s[2:3]
	global_load_b64 v[2:3], v10, s[0:1]
	v_add_nc_u64_e32 v[4:5], s[0:1], v[10:11]
	v_add_nc_u64_e32 v[6:7], s[2:3], v[10:11]
	s_wait_loadcnt 0x0
	v_add_nc_u64_e32 v[0:1], v[0:1], v[2:3]
	s_delay_alu instid0(VALU_DEP_1)
	v_add_nc_u64_e32 v[0:1], 1, v[0:1]
	s_clause 0x1
	global_store_b64 v10, v[0:1], s[0:1]
	global_load_b64 v[2:3], v10, s[2:3]
	s_wait_loadcnt 0x0
	v_add_nc_u64_e32 v[12:13], 1, v[2:3]
	s_clause 0x2
	global_store_b64 v10, v[12:13], s[0:1] offset:8
	global_load_b64 v[0:1], v10, s[2:3] offset:8
	global_store_b64 v10, v[12:13], s[2:3]
	s_wait_loadcnt 0x0
	global_store_b64 v10, v[0:1], s[0:1]
	s_wait_xcnt 0x0
	s_mov_b32 s1, exec_lo
	v_cmpx_ne_u64_e32 0, v[0:1]
	s_cbranch_execz .LBB39_7
; %bb.2:
	global_load_b64 v[8:9], v[6:7], off
	s_mov_b32 s0, exec_lo
	v_mov_b32_e32 v12, v11
                                        ; implicit-def: $vgpr10_vgpr11
	s_wait_loadcnt 0x0
	v_or_b32_e32 v13, v9, v1
	s_wait_xcnt 0x0
	s_delay_alu instid0(VALU_DEP_1)
	v_cmpx_ne_u64_e32 0, v[12:13]
	s_xor_b32 s2, exec_lo, s0
	s_cbranch_execz .LBB39_4
; %bb.3:
	v_cvt_f32_u32_e32 v10, v0
	v_cvt_f32_u32_e32 v11, v1
	v_sub_nc_u64_e32 v[12:13], 0, v[0:1]
	s_delay_alu instid0(VALU_DEP_2) | instskip(NEXT) | instid1(VALU_DEP_1)
	v_fmamk_f32 v10, v11, 0x4f800000, v10
	v_rcp_f32_e32 v10, v10
	v_nop
	s_delay_alu instid0(TRANS32_DEP_1) | instskip(NEXT) | instid1(VALU_DEP_1)
	v_mul_f32_e32 v10, 0x5f7ffffc, v10
	v_mul_f32_e32 v11, 0x2f800000, v10
	s_delay_alu instid0(VALU_DEP_1) | instskip(NEXT) | instid1(VALU_DEP_1)
	v_trunc_f32_e32 v11, v11
	v_fmamk_f32 v10, v11, 0xcf800000, v10
	v_cvt_u32_f32_e32 v15, v11
	s_delay_alu instid0(VALU_DEP_1) | instskip(NEXT) | instid1(VALU_DEP_1)
	v_dual_mov_b32 v11, 0 :: v_dual_mov_b32 v20, v15
	v_mov_b32_e32 v21, v11
	s_delay_alu instid0(VALU_DEP_4) | instskip(NEXT) | instid1(VALU_DEP_1)
	v_cvt_u32_f32_e32 v10, v10
	v_dual_mov_b32 v19, v11 :: v_dual_mov_b32 v14, v10
	s_delay_alu instid0(VALU_DEP_1) | instskip(NEXT) | instid1(VALU_DEP_1)
	v_mul_u64_e32 v[16:17], v[12:13], v[14:15]
	v_dual_mov_b32 v18, v17 :: v_dual_mov_b32 v17, v11
	s_delay_alu instid0(VALU_DEP_1) | instskip(NEXT) | instid1(VALU_DEP_2)
	v_mul_u64_e32 v[22:23], v[10:11], v[18:19]
	v_mul_u64_e32 v[24:25], v[20:21], v[16:17]
	;; [unrolled: 1-line block ×3, first 2 shown]
	v_mul_hi_u32 v16, v10, v16
	s_delay_alu instid0(VALU_DEP_1) | instskip(NEXT) | instid1(VALU_DEP_1)
	v_add_nc_u64_e32 v[16:17], v[16:17], v[22:23]
	v_add_co_u32 v14, vcc_lo, v16, v24
	s_delay_alu instid0(VALU_DEP_2) | instskip(SKIP_1) | instid1(VALU_DEP_1)
	v_add_co_ci_u32_e32 v20, vcc_lo, v17, v25, vcc_lo
	v_add_co_ci_u32_e32 v19, vcc_lo, 0, v19, vcc_lo
	v_add_nc_u64_e32 v[16:17], v[20:21], v[18:19]
	s_delay_alu instid0(VALU_DEP_1) | instskip(NEXT) | instid1(VALU_DEP_1)
	v_add_co_u32 v14, vcc_lo, v10, v16
	v_add_co_ci_u32_e64 v10, null, v15, v17, vcc_lo
	s_delay_alu instid0(VALU_DEP_1) | instskip(NEXT) | instid1(VALU_DEP_1)
	v_dual_mov_b32 v17, v11 :: v_dual_mov_b32 v15, v10
	v_mul_u64_e32 v[12:13], v[12:13], v[14:15]
	s_delay_alu instid0(VALU_DEP_1) | instskip(NEXT) | instid1(VALU_DEP_2)
	v_dual_mov_b32 v15, v11 :: v_dual_mov_b32 v16, v13
	v_mov_b32_e32 v20, v12
	v_mul_hi_u32 v12, v14, v12
	v_mov_b32_e32 v13, v11
	s_delay_alu instid0(VALU_DEP_4) | instskip(NEXT) | instid1(VALU_DEP_4)
	v_mul_u64_e32 v[18:19], v[14:15], v[16:17]
	v_mul_u64_e32 v[20:21], v[10:11], v[20:21]
	;; [unrolled: 1-line block ×3, first 2 shown]
	s_delay_alu instid0(VALU_DEP_3) | instskip(SKIP_1) | instid1(VALU_DEP_2)
	v_add_nc_u64_e32 v[12:13], v[12:13], v[18:19]
	v_mov_b32_e32 v19, v11
	v_add_co_u32 v12, vcc_lo, v12, v20
	s_delay_alu instid0(VALU_DEP_3) | instskip(SKIP_1) | instid1(VALU_DEP_1)
	v_add_co_ci_u32_e32 v18, vcc_lo, v13, v21, vcc_lo
	v_add_co_ci_u32_e32 v17, vcc_lo, 0, v17, vcc_lo
	v_add_nc_u64_e32 v[12:13], v[18:19], v[16:17]
	v_dual_mov_b32 v16, v8 :: v_dual_mov_b32 v17, v11
	s_delay_alu instid0(VALU_DEP_2) | instskip(NEXT) | instid1(VALU_DEP_1)
	v_add_co_u32 v12, vcc_lo, v14, v12
	v_add_co_ci_u32_e64 v10, null, v10, v13, vcc_lo
	v_dual_mov_b32 v14, v9 :: v_dual_mov_b32 v13, v11
	s_delay_alu instid0(VALU_DEP_2) | instskip(NEXT) | instid1(VALU_DEP_2)
	v_mul_u64_e32 v[16:17], v[16:17], v[10:11]
	v_mul_u64_e32 v[18:19], v[14:15], v[12:13]
	;; [unrolled: 1-line block ×3, first 2 shown]
	v_mul_hi_u32 v12, v8, v12
	s_delay_alu instid0(VALU_DEP_1) | instskip(NEXT) | instid1(VALU_DEP_1)
	v_add_nc_u64_e32 v[12:13], v[12:13], v[16:17]
	v_add_co_u32 v10, vcc_lo, v12, v18
	s_delay_alu instid0(VALU_DEP_2) | instskip(SKIP_1) | instid1(VALU_DEP_1)
	v_add_co_ci_u32_e32 v10, vcc_lo, v13, v19, vcc_lo
	v_add_co_ci_u32_e32 v15, vcc_lo, 0, v15, vcc_lo
	v_add_nc_u64_e32 v[10:11], v[10:11], v[14:15]
	s_delay_alu instid0(VALU_DEP_1) | instskip(NEXT) | instid1(VALU_DEP_1)
	v_mul_u64_e32 v[12:13], v[0:1], v[10:11]
	v_sub_nc_u32_e32 v14, v9, v13
	s_delay_alu instid0(VALU_DEP_2) | instskip(NEXT) | instid1(VALU_DEP_1)
	v_sub_co_u32 v8, vcc_lo, v8, v12
	v_sub_co_ci_u32_e64 v13, null, v9, v13, vcc_lo
	s_delay_alu instid0(VALU_DEP_3) | instskip(NEXT) | instid1(VALU_DEP_3)
	v_sub_co_ci_u32_e64 v12, null, v14, v1, vcc_lo
	v_sub_co_u32 v16, s0, v8, v0
	v_cmp_ge_u32_e32 vcc_lo, v8, v0
	s_delay_alu instid0(VALU_DEP_3) | instskip(NEXT) | instid1(VALU_DEP_3)
	v_subrev_co_ci_u32_e64 v12, null, 0, v12, s0
	v_cmp_ge_u32_e64 s0, v16, v0
	v_add_nc_u64_e32 v[14:15], 2, v[10:11]
	v_cndmask_b32_e64 v0, 0, -1, vcc_lo
	s_delay_alu instid0(VALU_DEP_4) | instskip(SKIP_3) | instid1(VALU_DEP_1)
	v_cmp_eq_u32_e32 vcc_lo, v12, v1
	v_add_nc_u64_e32 v[8:9], 1, v[10:11]
	v_cndmask_b32_e64 v16, 0, -1, s0
	v_cmp_ge_u32_e64 s0, v12, v1
	v_cndmask_b32_e64 v17, 0, -1, s0
	v_cmp_eq_u32_e64 s0, v13, v1
	s_delay_alu instid0(VALU_DEP_2) | instskip(SKIP_2) | instid1(VALU_DEP_3)
	v_cndmask_b32_e32 v12, v17, v16, vcc_lo
	v_cmp_ge_u32_e32 vcc_lo, v13, v1
	v_cndmask_b32_e64 v16, 0, -1, vcc_lo
	v_cmp_ne_u32_e32 vcc_lo, 0, v12
	s_delay_alu instid0(VALU_DEP_2) | instskip(SKIP_1) | instid1(VALU_DEP_2)
	v_cndmask_b32_e64 v0, v16, v0, s0
	v_dual_cndmask_b32 v8, v8, v14 :: v_dual_cndmask_b32 v1, v9, v15
	v_cmp_ne_u32_e32 vcc_lo, 0, v0
	s_delay_alu instid0(VALU_DEP_2)
	v_dual_cndmask_b32 v10, v10, v8 :: v_dual_cndmask_b32 v11, v11, v1
                                        ; implicit-def: $vgpr0_vgpr1
                                        ; implicit-def: $vgpr8_vgpr9
.LBB39_4:
	s_and_not1_saveexec_b32 s0, s2
	s_cbranch_execz .LBB39_6
; %bb.5:
	v_cvt_f32_u32_e32 v1, v0
	v_dual_sub_nc_u32 v9, 0, v0 :: v_dual_mov_b32 v11, 0
	s_delay_alu instid0(VALU_DEP_2) | instskip(SKIP_1) | instid1(TRANS32_DEP_1)
	v_rcp_iflag_f32_e32 v1, v1
	v_nop
	v_mul_f32_e32 v1, 0x4f7ffffe, v1
	s_delay_alu instid0(VALU_DEP_1) | instskip(NEXT) | instid1(VALU_DEP_1)
	v_cvt_u32_f32_e32 v1, v1
	v_mul_lo_u32 v9, v9, v1
	s_delay_alu instid0(VALU_DEP_1) | instskip(NEXT) | instid1(VALU_DEP_1)
	v_mul_hi_u32 v9, v1, v9
	v_add_nc_u32_e32 v1, v1, v9
	s_delay_alu instid0(VALU_DEP_1) | instskip(NEXT) | instid1(VALU_DEP_1)
	v_mul_hi_u32 v1, v8, v1
	v_mul_lo_u32 v9, v1, v0
	s_delay_alu instid0(VALU_DEP_1) | instskip(NEXT) | instid1(VALU_DEP_1)
	v_sub_nc_u32_e32 v8, v8, v9
	v_dual_add_nc_u32 v9, 1, v1 :: v_dual_sub_nc_u32 v10, v8, v0
	v_cmp_ge_u32_e32 vcc_lo, v8, v0
	s_delay_alu instid0(VALU_DEP_2) | instskip(NEXT) | instid1(VALU_DEP_1)
	v_dual_cndmask_b32 v8, v8, v10 :: v_dual_cndmask_b32 v1, v1, v9
	v_cmp_ge_u32_e32 vcc_lo, v8, v0
	s_delay_alu instid0(VALU_DEP_2) | instskip(NEXT) | instid1(VALU_DEP_1)
	v_add_nc_u32_e32 v9, 1, v1
	v_cndmask_b32_e32 v10, v1, v9, vcc_lo
.LBB39_6:
	s_or_b32 exec_lo, exec_lo, s0
	global_store_b64 v[6:7], v[10:11], off
	global_load_b64 v[8:9], v[4:5], off
.LBB39_7:
	s_wait_xcnt 0x0
	s_or_b32 exec_lo, exec_lo, s1
	global_load_b64 v[0:1], v[6:7], off offset:16
	s_wait_loadcnt 0x0
	v_mul_u64_e32 v[0:1], v[0:1], v[8:9]
	global_store_b128 v[4:5], v[0:3], off
	s_clause 0x1
	global_store_b64 v[6:7], v[0:1], off offset:24
	global_load_b64 v[0:1], v[6:7], off offset:8
	global_load_b64 v[2:3], v[4:5], off offset:24
	s_wait_loadcnt 0x0
	v_sub_nc_u64_e32 v[0:1], v[2:3], v[0:1]
	global_store_b64 v[4:5], v[0:1], off offset:24
.LBB39_8:
	s_endpgm
	.section	.rodata,"a",@progbits
	.p2align	6, 0x0
	.amdhsa_kernel _Z17testOperationsGPUI15HIP_vector_typeImLj4EES0_ImLj1EEEvPT_S4_i
		.amdhsa_group_segment_fixed_size 0
		.amdhsa_private_segment_fixed_size 0
		.amdhsa_kernarg_size 20
		.amdhsa_user_sgpr_count 2
		.amdhsa_user_sgpr_dispatch_ptr 0
		.amdhsa_user_sgpr_queue_ptr 0
		.amdhsa_user_sgpr_kernarg_segment_ptr 1
		.amdhsa_user_sgpr_dispatch_id 0
		.amdhsa_user_sgpr_kernarg_preload_length 0
		.amdhsa_user_sgpr_kernarg_preload_offset 0
		.amdhsa_user_sgpr_private_segment_size 0
		.amdhsa_wavefront_size32 1
		.amdhsa_uses_dynamic_stack 0
		.amdhsa_enable_private_segment 0
		.amdhsa_system_sgpr_workgroup_id_x 1
		.amdhsa_system_sgpr_workgroup_id_y 0
		.amdhsa_system_sgpr_workgroup_id_z 0
		.amdhsa_system_sgpr_workgroup_info 0
		.amdhsa_system_vgpr_workitem_id 0
		.amdhsa_next_free_vgpr 26
		.amdhsa_next_free_sgpr 4
		.amdhsa_named_barrier_count 0
		.amdhsa_reserve_vcc 1
		.amdhsa_float_round_mode_32 0
		.amdhsa_float_round_mode_16_64 0
		.amdhsa_float_denorm_mode_32 3
		.amdhsa_float_denorm_mode_16_64 3
		.amdhsa_fp16_overflow 0
		.amdhsa_memory_ordered 1
		.amdhsa_forward_progress 1
		.amdhsa_inst_pref_size 9
		.amdhsa_round_robin_scheduling 0
		.amdhsa_exception_fp_ieee_invalid_op 0
		.amdhsa_exception_fp_denorm_src 0
		.amdhsa_exception_fp_ieee_div_zero 0
		.amdhsa_exception_fp_ieee_overflow 0
		.amdhsa_exception_fp_ieee_underflow 0
		.amdhsa_exception_fp_ieee_inexact 0
		.amdhsa_exception_int_div_zero 0
	.end_amdhsa_kernel
	.section	.text._Z17testOperationsGPUI15HIP_vector_typeImLj4EES0_ImLj1EEEvPT_S4_i,"axG",@progbits,_Z17testOperationsGPUI15HIP_vector_typeImLj4EES0_ImLj1EEEvPT_S4_i,comdat
.Lfunc_end39:
	.size	_Z17testOperationsGPUI15HIP_vector_typeImLj4EES0_ImLj1EEEvPT_S4_i, .Lfunc_end39-_Z17testOperationsGPUI15HIP_vector_typeImLj4EES0_ImLj1EEEvPT_S4_i
                                        ; -- End function
	.set _Z17testOperationsGPUI15HIP_vector_typeImLj4EES0_ImLj1EEEvPT_S4_i.num_vgpr, 26
	.set _Z17testOperationsGPUI15HIP_vector_typeImLj4EES0_ImLj1EEEvPT_S4_i.num_agpr, 0
	.set _Z17testOperationsGPUI15HIP_vector_typeImLj4EES0_ImLj1EEEvPT_S4_i.numbered_sgpr, 4
	.set _Z17testOperationsGPUI15HIP_vector_typeImLj4EES0_ImLj1EEEvPT_S4_i.num_named_barrier, 0
	.set _Z17testOperationsGPUI15HIP_vector_typeImLj4EES0_ImLj1EEEvPT_S4_i.private_seg_size, 0
	.set _Z17testOperationsGPUI15HIP_vector_typeImLj4EES0_ImLj1EEEvPT_S4_i.uses_vcc, 1
	.set _Z17testOperationsGPUI15HIP_vector_typeImLj4EES0_ImLj1EEEvPT_S4_i.uses_flat_scratch, 0
	.set _Z17testOperationsGPUI15HIP_vector_typeImLj4EES0_ImLj1EEEvPT_S4_i.has_dyn_sized_stack, 0
	.set _Z17testOperationsGPUI15HIP_vector_typeImLj4EES0_ImLj1EEEvPT_S4_i.has_recursion, 0
	.set _Z17testOperationsGPUI15HIP_vector_typeImLj4EES0_ImLj1EEEvPT_S4_i.has_indirect_call, 0
	.section	.AMDGPU.csdata,"",@progbits
; Kernel info:
; codeLenInByte = 1116
; TotalNumSgprs: 6
; NumVgprs: 26
; ScratchSize: 0
; MemoryBound: 0
; FloatMode: 240
; IeeeMode: 1
; LDSByteSize: 0 bytes/workgroup (compile time only)
; SGPRBlocks: 0
; VGPRBlocks: 1
; NumSGPRsForWavesPerEU: 6
; NumVGPRsForWavesPerEU: 26
; NamedBarCnt: 0
; Occupancy: 16
; WaveLimiterHint : 0
; COMPUTE_PGM_RSRC2:SCRATCH_EN: 0
; COMPUTE_PGM_RSRC2:USER_SGPR: 2
; COMPUTE_PGM_RSRC2:TRAP_HANDLER: 0
; COMPUTE_PGM_RSRC2:TGID_X_EN: 1
; COMPUTE_PGM_RSRC2:TGID_Y_EN: 0
; COMPUTE_PGM_RSRC2:TGID_Z_EN: 0
; COMPUTE_PGM_RSRC2:TIDIG_COMP_CNT: 0
	.section	.text._Z17testOperationsGPUI15HIP_vector_typeIyLj1EES1_EvPT_S3_i,"axG",@progbits,_Z17testOperationsGPUI15HIP_vector_typeIyLj1EES1_EvPT_S3_i,comdat
	.protected	_Z17testOperationsGPUI15HIP_vector_typeIyLj1EES1_EvPT_S3_i ; -- Begin function _Z17testOperationsGPUI15HIP_vector_typeIyLj1EES1_EvPT_S3_i
	.globl	_Z17testOperationsGPUI15HIP_vector_typeIyLj1EES1_EvPT_S3_i
	.p2align	8
	.type	_Z17testOperationsGPUI15HIP_vector_typeIyLj1EES1_EvPT_S3_i,@function
_Z17testOperationsGPUI15HIP_vector_typeIyLj1EES1_EvPT_S3_i: ; @_Z17testOperationsGPUI15HIP_vector_typeIyLj1EES1_EvPT_S3_i
; %bb.0:
	s_load_b32 s2, s[0:1], 0x10
	s_wait_kmcnt 0x0
	v_cmp_ge_i32_e32 vcc_lo, s2, v0
	s_and_saveexec_b32 s2, vcc_lo
	s_cbranch_execz .LBB40_2
; %bb.1:
	s_load_b128 s[0:3], s[0:1], 0x0
	s_wait_kmcnt 0x0
	s_clause 0x1
	global_load_b64 v[2:3], v0, s[2:3] scale_offset
	global_load_b64 v[4:5], v0, s[0:1] scale_offset
	s_wait_loadcnt 0x0
	v_add_nc_u64_e32 v[2:3], v[2:3], v[4:5]
	s_delay_alu instid0(VALU_DEP_1)
	v_add_nc_u64_e32 v[2:3], 1, v[2:3]
	s_clause 0x1
	global_store_b64 v0, v[2:3], s[0:1] scale_offset
	global_load_b64 v[2:3], v0, s[2:3] scale_offset
	s_wait_loadcnt 0x0
	v_add_nc_u64_e32 v[2:3], 1, v[2:3]
	global_store_b64 v0, v[2:3], s[2:3] scale_offset
.LBB40_2:
	s_endpgm
	.section	.rodata,"a",@progbits
	.p2align	6, 0x0
	.amdhsa_kernel _Z17testOperationsGPUI15HIP_vector_typeIyLj1EES1_EvPT_S3_i
		.amdhsa_group_segment_fixed_size 0
		.amdhsa_private_segment_fixed_size 0
		.amdhsa_kernarg_size 20
		.amdhsa_user_sgpr_count 2
		.amdhsa_user_sgpr_dispatch_ptr 0
		.amdhsa_user_sgpr_queue_ptr 0
		.amdhsa_user_sgpr_kernarg_segment_ptr 1
		.amdhsa_user_sgpr_dispatch_id 0
		.amdhsa_user_sgpr_kernarg_preload_length 0
		.amdhsa_user_sgpr_kernarg_preload_offset 0
		.amdhsa_user_sgpr_private_segment_size 0
		.amdhsa_wavefront_size32 1
		.amdhsa_uses_dynamic_stack 0
		.amdhsa_enable_private_segment 0
		.amdhsa_system_sgpr_workgroup_id_x 1
		.amdhsa_system_sgpr_workgroup_id_y 0
		.amdhsa_system_sgpr_workgroup_id_z 0
		.amdhsa_system_sgpr_workgroup_info 0
		.amdhsa_system_vgpr_workitem_id 0
		.amdhsa_next_free_vgpr 6
		.amdhsa_next_free_sgpr 4
		.amdhsa_named_barrier_count 0
		.amdhsa_reserve_vcc 1
		.amdhsa_float_round_mode_32 0
		.amdhsa_float_round_mode_16_64 0
		.amdhsa_float_denorm_mode_32 3
		.amdhsa_float_denorm_mode_16_64 3
		.amdhsa_fp16_overflow 0
		.amdhsa_memory_ordered 1
		.amdhsa_forward_progress 1
		.amdhsa_inst_pref_size 2
		.amdhsa_round_robin_scheduling 0
		.amdhsa_exception_fp_ieee_invalid_op 0
		.amdhsa_exception_fp_denorm_src 0
		.amdhsa_exception_fp_ieee_div_zero 0
		.amdhsa_exception_fp_ieee_overflow 0
		.amdhsa_exception_fp_ieee_underflow 0
		.amdhsa_exception_fp_ieee_inexact 0
		.amdhsa_exception_int_div_zero 0
	.end_amdhsa_kernel
	.section	.text._Z17testOperationsGPUI15HIP_vector_typeIyLj1EES1_EvPT_S3_i,"axG",@progbits,_Z17testOperationsGPUI15HIP_vector_typeIyLj1EES1_EvPT_S3_i,comdat
.Lfunc_end40:
	.size	_Z17testOperationsGPUI15HIP_vector_typeIyLj1EES1_EvPT_S3_i, .Lfunc_end40-_Z17testOperationsGPUI15HIP_vector_typeIyLj1EES1_EvPT_S3_i
                                        ; -- End function
	.set _Z17testOperationsGPUI15HIP_vector_typeIyLj1EES1_EvPT_S3_i.num_vgpr, 6
	.set _Z17testOperationsGPUI15HIP_vector_typeIyLj1EES1_EvPT_S3_i.num_agpr, 0
	.set _Z17testOperationsGPUI15HIP_vector_typeIyLj1EES1_EvPT_S3_i.numbered_sgpr, 4
	.set _Z17testOperationsGPUI15HIP_vector_typeIyLj1EES1_EvPT_S3_i.num_named_barrier, 0
	.set _Z17testOperationsGPUI15HIP_vector_typeIyLj1EES1_EvPT_S3_i.private_seg_size, 0
	.set _Z17testOperationsGPUI15HIP_vector_typeIyLj1EES1_EvPT_S3_i.uses_vcc, 1
	.set _Z17testOperationsGPUI15HIP_vector_typeIyLj1EES1_EvPT_S3_i.uses_flat_scratch, 0
	.set _Z17testOperationsGPUI15HIP_vector_typeIyLj1EES1_EvPT_S3_i.has_dyn_sized_stack, 0
	.set _Z17testOperationsGPUI15HIP_vector_typeIyLj1EES1_EvPT_S3_i.has_recursion, 0
	.set _Z17testOperationsGPUI15HIP_vector_typeIyLj1EES1_EvPT_S3_i.has_indirect_call, 0
	.section	.AMDGPU.csdata,"",@progbits
; Kernel info:
; codeLenInByte = 132
; TotalNumSgprs: 6
; NumVgprs: 6
; ScratchSize: 0
; MemoryBound: 0
; FloatMode: 240
; IeeeMode: 1
; LDSByteSize: 0 bytes/workgroup (compile time only)
; SGPRBlocks: 0
; VGPRBlocks: 0
; NumSGPRsForWavesPerEU: 6
; NumVGPRsForWavesPerEU: 6
; NamedBarCnt: 0
; Occupancy: 16
; WaveLimiterHint : 0
; COMPUTE_PGM_RSRC2:SCRATCH_EN: 0
; COMPUTE_PGM_RSRC2:USER_SGPR: 2
; COMPUTE_PGM_RSRC2:TRAP_HANDLER: 0
; COMPUTE_PGM_RSRC2:TGID_X_EN: 1
; COMPUTE_PGM_RSRC2:TGID_Y_EN: 0
; COMPUTE_PGM_RSRC2:TGID_Z_EN: 0
; COMPUTE_PGM_RSRC2:TIDIG_COMP_CNT: 0
	.section	.text._Z17testOperationsGPUI15HIP_vector_typeIyLj2EES0_IyLj1EEEvPT_S4_i,"axG",@progbits,_Z17testOperationsGPUI15HIP_vector_typeIyLj2EES0_IyLj1EEEvPT_S4_i,comdat
	.protected	_Z17testOperationsGPUI15HIP_vector_typeIyLj2EES0_IyLj1EEEvPT_S4_i ; -- Begin function _Z17testOperationsGPUI15HIP_vector_typeIyLj2EES0_IyLj1EEEvPT_S4_i
	.globl	_Z17testOperationsGPUI15HIP_vector_typeIyLj2EES0_IyLj1EEEvPT_S4_i
	.p2align	8
	.type	_Z17testOperationsGPUI15HIP_vector_typeIyLj2EES0_IyLj1EEEvPT_S4_i,@function
_Z17testOperationsGPUI15HIP_vector_typeIyLj2EES0_IyLj1EEEvPT_S4_i: ; @_Z17testOperationsGPUI15HIP_vector_typeIyLj2EES0_IyLj1EEEvPT_S4_i
; %bb.0:
	s_load_b32 s2, s[0:1], 0x10
	s_wait_kmcnt 0x0
	v_cmp_ge_i32_e32 vcc_lo, s2, v0
	s_and_saveexec_b32 s2, vcc_lo
	s_cbranch_execz .LBB41_2
; %bb.1:
	s_load_b128 s[0:3], s[0:1], 0x0
	v_lshlrev_b32_e32 v4, 4, v0
	s_wait_kmcnt 0x0
	s_clause 0x1
	global_load_b64 v[0:1], v4, s[2:3]
	global_load_b64 v[2:3], v4, s[0:1]
	s_wait_loadcnt 0x0
	v_add_nc_u64_e32 v[0:1], v[0:1], v[2:3]
	s_delay_alu instid0(VALU_DEP_1)
	v_add_nc_u64_e32 v[0:1], 1, v[0:1]
	s_clause 0x1
	global_store_b64 v4, v[0:1], s[0:1]
	global_load_b64 v[0:1], v4, s[2:3]
	s_wait_loadcnt 0x0
	v_add_nc_u64_e32 v[0:1], 1, v[0:1]
	s_clause 0x2
	global_store_b64 v4, v[0:1], s[0:1] offset:8
	global_load_b64 v[2:3], v4, s[2:3] offset:8
	global_store_b64 v4, v[0:1], s[2:3]
	s_wait_loadcnt 0x0
	global_store_b64 v4, v[2:3], s[0:1]
.LBB41_2:
	s_endpgm
	.section	.rodata,"a",@progbits
	.p2align	6, 0x0
	.amdhsa_kernel _Z17testOperationsGPUI15HIP_vector_typeIyLj2EES0_IyLj1EEEvPT_S4_i
		.amdhsa_group_segment_fixed_size 0
		.amdhsa_private_segment_fixed_size 0
		.amdhsa_kernarg_size 20
		.amdhsa_user_sgpr_count 2
		.amdhsa_user_sgpr_dispatch_ptr 0
		.amdhsa_user_sgpr_queue_ptr 0
		.amdhsa_user_sgpr_kernarg_segment_ptr 1
		.amdhsa_user_sgpr_dispatch_id 0
		.amdhsa_user_sgpr_kernarg_preload_length 0
		.amdhsa_user_sgpr_kernarg_preload_offset 0
		.amdhsa_user_sgpr_private_segment_size 0
		.amdhsa_wavefront_size32 1
		.amdhsa_uses_dynamic_stack 0
		.amdhsa_enable_private_segment 0
		.amdhsa_system_sgpr_workgroup_id_x 1
		.amdhsa_system_sgpr_workgroup_id_y 0
		.amdhsa_system_sgpr_workgroup_id_z 0
		.amdhsa_system_sgpr_workgroup_info 0
		.amdhsa_system_vgpr_workitem_id 0
		.amdhsa_next_free_vgpr 5
		.amdhsa_next_free_sgpr 4
		.amdhsa_named_barrier_count 0
		.amdhsa_reserve_vcc 1
		.amdhsa_float_round_mode_32 0
		.amdhsa_float_round_mode_16_64 0
		.amdhsa_float_denorm_mode_32 3
		.amdhsa_float_denorm_mode_16_64 3
		.amdhsa_fp16_overflow 0
		.amdhsa_memory_ordered 1
		.amdhsa_forward_progress 1
		.amdhsa_inst_pref_size 2
		.amdhsa_round_robin_scheduling 0
		.amdhsa_exception_fp_ieee_invalid_op 0
		.amdhsa_exception_fp_denorm_src 0
		.amdhsa_exception_fp_ieee_div_zero 0
		.amdhsa_exception_fp_ieee_overflow 0
		.amdhsa_exception_fp_ieee_underflow 0
		.amdhsa_exception_fp_ieee_inexact 0
		.amdhsa_exception_int_div_zero 0
	.end_amdhsa_kernel
	.section	.text._Z17testOperationsGPUI15HIP_vector_typeIyLj2EES0_IyLj1EEEvPT_S4_i,"axG",@progbits,_Z17testOperationsGPUI15HIP_vector_typeIyLj2EES0_IyLj1EEEvPT_S4_i,comdat
.Lfunc_end41:
	.size	_Z17testOperationsGPUI15HIP_vector_typeIyLj2EES0_IyLj1EEEvPT_S4_i, .Lfunc_end41-_Z17testOperationsGPUI15HIP_vector_typeIyLj2EES0_IyLj1EEEvPT_S4_i
                                        ; -- End function
	.set _Z17testOperationsGPUI15HIP_vector_typeIyLj2EES0_IyLj1EEEvPT_S4_i.num_vgpr, 5
	.set _Z17testOperationsGPUI15HIP_vector_typeIyLj2EES0_IyLj1EEEvPT_S4_i.num_agpr, 0
	.set _Z17testOperationsGPUI15HIP_vector_typeIyLj2EES0_IyLj1EEEvPT_S4_i.numbered_sgpr, 4
	.set _Z17testOperationsGPUI15HIP_vector_typeIyLj2EES0_IyLj1EEEvPT_S4_i.num_named_barrier, 0
	.set _Z17testOperationsGPUI15HIP_vector_typeIyLj2EES0_IyLj1EEEvPT_S4_i.private_seg_size, 0
	.set _Z17testOperationsGPUI15HIP_vector_typeIyLj2EES0_IyLj1EEEvPT_S4_i.uses_vcc, 1
	.set _Z17testOperationsGPUI15HIP_vector_typeIyLj2EES0_IyLj1EEEvPT_S4_i.uses_flat_scratch, 0
	.set _Z17testOperationsGPUI15HIP_vector_typeIyLj2EES0_IyLj1EEEvPT_S4_i.has_dyn_sized_stack, 0
	.set _Z17testOperationsGPUI15HIP_vector_typeIyLj2EES0_IyLj1EEEvPT_S4_i.has_recursion, 0
	.set _Z17testOperationsGPUI15HIP_vector_typeIyLj2EES0_IyLj1EEEvPT_S4_i.has_indirect_call, 0
	.section	.AMDGPU.csdata,"",@progbits
; Kernel info:
; codeLenInByte = 180
; TotalNumSgprs: 6
; NumVgprs: 5
; ScratchSize: 0
; MemoryBound: 1
; FloatMode: 240
; IeeeMode: 1
; LDSByteSize: 0 bytes/workgroup (compile time only)
; SGPRBlocks: 0
; VGPRBlocks: 0
; NumSGPRsForWavesPerEU: 6
; NumVGPRsForWavesPerEU: 5
; NamedBarCnt: 0
; Occupancy: 16
; WaveLimiterHint : 1
; COMPUTE_PGM_RSRC2:SCRATCH_EN: 0
; COMPUTE_PGM_RSRC2:USER_SGPR: 2
; COMPUTE_PGM_RSRC2:TRAP_HANDLER: 0
; COMPUTE_PGM_RSRC2:TGID_X_EN: 1
; COMPUTE_PGM_RSRC2:TGID_Y_EN: 0
; COMPUTE_PGM_RSRC2:TGID_Z_EN: 0
; COMPUTE_PGM_RSRC2:TIDIG_COMP_CNT: 0
	.section	.text._Z17testOperationsGPUI15HIP_vector_typeIyLj3EES0_IyLj1EEEvPT_S4_i,"axG",@progbits,_Z17testOperationsGPUI15HIP_vector_typeIyLj3EES0_IyLj1EEEvPT_S4_i,comdat
	.protected	_Z17testOperationsGPUI15HIP_vector_typeIyLj3EES0_IyLj1EEEvPT_S4_i ; -- Begin function _Z17testOperationsGPUI15HIP_vector_typeIyLj3EES0_IyLj1EEEvPT_S4_i
	.globl	_Z17testOperationsGPUI15HIP_vector_typeIyLj3EES0_IyLj1EEEvPT_S4_i
	.p2align	8
	.type	_Z17testOperationsGPUI15HIP_vector_typeIyLj3EES0_IyLj1EEEvPT_S4_i,@function
_Z17testOperationsGPUI15HIP_vector_typeIyLj3EES0_IyLj1EEEvPT_S4_i: ; @_Z17testOperationsGPUI15HIP_vector_typeIyLj3EES0_IyLj1EEEvPT_S4_i
; %bb.0:
	s_load_b32 s2, s[0:1], 0x10
	s_wait_kmcnt 0x0
	v_cmp_ge_i32_e32 vcc_lo, s2, v0
	s_and_saveexec_b32 s2, vcc_lo
	s_cbranch_execz .LBB42_8
; %bb.1:
	s_load_b128 s[0:3], s[0:1], 0x0
	v_mov_b64_e32 v[8:9], 0
	s_wait_kmcnt 0x0
	v_mad_nc_u64_u32 v[6:7], v0, 24, s[2:3]
	v_mad_nc_u64_u32 v[4:5], v0, 24, s[0:1]
	s_mov_b32 s1, exec_lo
	global_load_b64 v[0:1], v[6:7], off
	global_load_b64 v[2:3], v[4:5], off
	s_wait_loadcnt 0x0
	v_add_nc_u64_e32 v[0:1], v[0:1], v[2:3]
	s_delay_alu instid0(VALU_DEP_1)
	v_add_nc_u64_e32 v[0:1], 1, v[0:1]
	global_store_b64 v[4:5], v[0:1], off
	global_load_b64 v[2:3], v[6:7], off
	s_wait_loadcnt 0x0
	v_add_nc_u64_e32 v[10:11], 1, v[2:3]
	global_store_b64 v[4:5], v[10:11], off offset:8
	s_clause 0x1
	global_load_b64 v[0:1], v[6:7], off offset:8
	global_store_b64 v[6:7], v[10:11], off
	s_wait_loadcnt 0x0
	global_store_b64 v[4:5], v[0:1], off
	s_wait_xcnt 0x0
	v_cmpx_ne_u64_e32 0, v[0:1]
	s_cbranch_execz .LBB42_7
; %bb.2:
	global_load_b64 v[8:9], v[6:7], off
                                        ; implicit-def: $vgpr12_vgpr13
	s_mov_b32 s0, exec_lo
	s_wait_loadcnt 0x0
	v_dual_mov_b32 v10, 0 :: v_dual_bitop2_b32 v11, v9, v1 bitop3:0x54
	s_wait_xcnt 0x0
	s_delay_alu instid0(VALU_DEP_1)
	v_cmpx_ne_u64_e32 0, v[10:11]
	s_xor_b32 s2, exec_lo, s0
	s_cbranch_execz .LBB42_4
; %bb.3:
	v_cvt_f32_u32_e32 v11, v0
	v_cvt_f32_u32_e32 v12, v1
	v_sub_nc_u64_e32 v[14:15], 0, v[0:1]
	v_dual_mov_b32 v21, v10 :: v_dual_mov_b32 v23, v10
	s_delay_alu instid0(VALU_DEP_3) | instskip(NEXT) | instid1(VALU_DEP_1)
	v_fmamk_f32 v11, v12, 0x4f800000, v11
	v_rcp_f32_e32 v11, v11
	v_nop
	s_delay_alu instid0(TRANS32_DEP_1) | instskip(NEXT) | instid1(VALU_DEP_1)
	v_mul_f32_e32 v11, 0x5f7ffffc, v11
	v_mul_f32_e32 v12, 0x2f800000, v11
	s_delay_alu instid0(VALU_DEP_1) | instskip(NEXT) | instid1(VALU_DEP_1)
	v_trunc_f32_e32 v13, v12
	v_fmamk_f32 v11, v13, 0xcf800000, v11
	v_cvt_u32_f32_e32 v17, v13
	v_mov_b32_e32 v13, v10
	s_delay_alu instid0(VALU_DEP_3) | instskip(NEXT) | instid1(VALU_DEP_1)
	v_cvt_u32_f32_e32 v12, v11
	v_dual_mov_b32 v22, v17 :: v_dual_mov_b32 v16, v12
	s_delay_alu instid0(VALU_DEP_1) | instskip(NEXT) | instid1(VALU_DEP_1)
	v_mul_u64_e32 v[18:19], v[14:15], v[16:17]
	v_dual_mov_b32 v20, v19 :: v_dual_mov_b32 v19, v10
	s_delay_alu instid0(VALU_DEP_1) | instskip(NEXT) | instid1(VALU_DEP_2)
	v_mul_u64_e32 v[24:25], v[12:13], v[20:21]
	v_mul_u64_e32 v[26:27], v[22:23], v[18:19]
	;; [unrolled: 1-line block ×3, first 2 shown]
	v_mul_hi_u32 v18, v12, v18
	s_delay_alu instid0(VALU_DEP_1) | instskip(NEXT) | instid1(VALU_DEP_1)
	v_add_nc_u64_e32 v[18:19], v[18:19], v[24:25]
	v_add_co_u32 v11, vcc_lo, v18, v26
	s_delay_alu instid0(VALU_DEP_2) | instskip(SKIP_1) | instid1(VALU_DEP_1)
	v_add_co_ci_u32_e32 v22, vcc_lo, v19, v27, vcc_lo
	v_add_co_ci_u32_e32 v21, vcc_lo, 0, v21, vcc_lo
	v_add_nc_u64_e32 v[18:19], v[22:23], v[20:21]
	s_delay_alu instid0(VALU_DEP_1) | instskip(NEXT) | instid1(VALU_DEP_1)
	v_add_co_u32 v12, vcc_lo, v12, v18
	v_add_co_ci_u32_e64 v16, null, v17, v19, vcc_lo
	v_dual_mov_b32 v19, v10 :: v_dual_mov_b32 v17, v10
	s_delay_alu instid0(VALU_DEP_2) | instskip(NEXT) | instid1(VALU_DEP_1)
	v_mov_b32_e32 v13, v16
	v_mul_u64_e32 v[14:15], v[14:15], v[12:13]
	s_delay_alu instid0(VALU_DEP_1) | instskip(NEXT) | instid1(VALU_DEP_2)
	v_dual_mov_b32 v13, v10 :: v_dual_mov_b32 v18, v15
	v_dual_mov_b32 v22, v14 :: v_dual_mov_b32 v15, v10
	v_mul_hi_u32 v14, v12, v14
	s_delay_alu instid0(VALU_DEP_3) | instskip(NEXT) | instid1(VALU_DEP_3)
	v_mul_u64_e32 v[20:21], v[12:13], v[18:19]
	v_mul_u64_e32 v[22:23], v[16:17], v[22:23]
	;; [unrolled: 1-line block ×3, first 2 shown]
	s_delay_alu instid0(VALU_DEP_3) | instskip(SKIP_1) | instid1(VALU_DEP_2)
	v_add_nc_u64_e32 v[14:15], v[14:15], v[20:21]
	v_mov_b32_e32 v21, v10
	v_add_co_u32 v11, vcc_lo, v14, v22
	s_delay_alu instid0(VALU_DEP_3) | instskip(SKIP_2) | instid1(VALU_DEP_2)
	v_add_co_ci_u32_e32 v20, vcc_lo, v15, v23, vcc_lo
	v_add_co_ci_u32_e32 v19, vcc_lo, 0, v19, vcc_lo
	v_mov_b32_e32 v11, v10
	v_add_nc_u64_e32 v[14:15], v[20:21], v[18:19]
	v_dual_mov_b32 v18, v8 :: v_dual_mov_b32 v19, v10
	s_delay_alu instid0(VALU_DEP_2) | instskip(NEXT) | instid1(VALU_DEP_1)
	v_add_co_u32 v14, vcc_lo, v12, v14
	v_add_co_ci_u32_e64 v12, null, v16, v15, vcc_lo
	v_dual_mov_b32 v16, v9 :: v_dual_mov_b32 v15, v10
	s_delay_alu instid0(VALU_DEP_2) | instskip(NEXT) | instid1(VALU_DEP_2)
	v_mul_u64_e32 v[18:19], v[18:19], v[12:13]
	v_mul_u64_e32 v[12:13], v[16:17], v[12:13]
	s_delay_alu instid0(VALU_DEP_3) | instskip(SKIP_1) | instid1(VALU_DEP_1)
	v_mul_u64_e32 v[20:21], v[16:17], v[14:15]
	v_mul_hi_u32 v14, v8, v14
	v_add_nc_u64_e32 v[14:15], v[14:15], v[18:19]
	s_delay_alu instid0(VALU_DEP_1) | instskip(NEXT) | instid1(VALU_DEP_2)
	v_add_co_u32 v10, vcc_lo, v14, v20
	v_add_co_ci_u32_e32 v10, vcc_lo, v15, v21, vcc_lo
	v_add_co_ci_u32_e32 v13, vcc_lo, 0, v13, vcc_lo
	s_delay_alu instid0(VALU_DEP_1) | instskip(NEXT) | instid1(VALU_DEP_1)
	v_add_nc_u64_e32 v[10:11], v[10:11], v[12:13]
	v_mul_u64_e32 v[12:13], v[0:1], v[10:11]
	s_delay_alu instid0(VALU_DEP_1) | instskip(NEXT) | instid1(VALU_DEP_2)
	v_sub_nc_u32_e32 v14, v9, v13
	v_sub_co_u32 v8, vcc_lo, v8, v12
	s_delay_alu instid0(VALU_DEP_1) | instskip(NEXT) | instid1(VALU_DEP_3)
	v_sub_co_ci_u32_e64 v13, null, v9, v13, vcc_lo
	v_sub_co_ci_u32_e64 v12, null, v14, v1, vcc_lo
	s_delay_alu instid0(VALU_DEP_3) | instskip(SKIP_1) | instid1(VALU_DEP_3)
	v_sub_co_u32 v16, s0, v8, v0
	v_cmp_ge_u32_e32 vcc_lo, v8, v0
	v_subrev_co_ci_u32_e64 v12, null, 0, v12, s0
	s_delay_alu instid0(VALU_DEP_3) | instskip(SKIP_2) | instid1(VALU_DEP_4)
	v_cmp_ge_u32_e64 s0, v16, v0
	v_add_nc_u64_e32 v[14:15], 2, v[10:11]
	v_cndmask_b32_e64 v0, 0, -1, vcc_lo
	v_cmp_eq_u32_e32 vcc_lo, v12, v1
	v_add_nc_u64_e32 v[8:9], 1, v[10:11]
	v_cndmask_b32_e64 v16, 0, -1, s0
	v_cmp_ge_u32_e64 s0, v12, v1
	s_delay_alu instid0(VALU_DEP_1) | instskip(SKIP_1) | instid1(VALU_DEP_2)
	v_cndmask_b32_e64 v17, 0, -1, s0
	v_cmp_eq_u32_e64 s0, v13, v1
	v_cndmask_b32_e32 v12, v17, v16, vcc_lo
	v_cmp_ge_u32_e32 vcc_lo, v13, v1
	v_cndmask_b32_e64 v16, 0, -1, vcc_lo
	s_delay_alu instid0(VALU_DEP_3) | instskip(NEXT) | instid1(VALU_DEP_2)
	v_cmp_ne_u32_e32 vcc_lo, 0, v12
	v_cndmask_b32_e64 v0, v16, v0, s0
	v_dual_cndmask_b32 v8, v8, v14 :: v_dual_cndmask_b32 v1, v9, v15
	s_delay_alu instid0(VALU_DEP_2) | instskip(NEXT) | instid1(VALU_DEP_2)
	v_cmp_ne_u32_e32 vcc_lo, 0, v0
	v_dual_cndmask_b32 v12, v10, v8 :: v_dual_cndmask_b32 v13, v11, v1
                                        ; implicit-def: $vgpr0_vgpr1
                                        ; implicit-def: $vgpr8_vgpr9
.LBB42_4:
	s_and_not1_saveexec_b32 s0, s2
	s_cbranch_execz .LBB42_6
; %bb.5:
	v_cvt_f32_u32_e32 v1, v0
	v_dual_sub_nc_u32 v9, 0, v0 :: v_dual_mov_b32 v13, 0
	s_delay_alu instid0(VALU_DEP_2) | instskip(SKIP_1) | instid1(TRANS32_DEP_1)
	v_rcp_iflag_f32_e32 v1, v1
	v_nop
	v_mul_f32_e32 v1, 0x4f7ffffe, v1
	s_delay_alu instid0(VALU_DEP_1) | instskip(NEXT) | instid1(VALU_DEP_1)
	v_cvt_u32_f32_e32 v1, v1
	v_mul_lo_u32 v9, v9, v1
	s_delay_alu instid0(VALU_DEP_1) | instskip(NEXT) | instid1(VALU_DEP_1)
	v_mul_hi_u32 v9, v1, v9
	v_add_nc_u32_e32 v1, v1, v9
	s_delay_alu instid0(VALU_DEP_1) | instskip(NEXT) | instid1(VALU_DEP_1)
	v_mul_hi_u32 v1, v8, v1
	v_mul_lo_u32 v9, v1, v0
	s_delay_alu instid0(VALU_DEP_1) | instskip(NEXT) | instid1(VALU_DEP_1)
	v_sub_nc_u32_e32 v8, v8, v9
	v_dual_add_nc_u32 v9, 1, v1 :: v_dual_sub_nc_u32 v10, v8, v0
	v_cmp_ge_u32_e32 vcc_lo, v8, v0
	s_delay_alu instid0(VALU_DEP_2) | instskip(NEXT) | instid1(VALU_DEP_1)
	v_dual_cndmask_b32 v8, v8, v10 :: v_dual_cndmask_b32 v1, v1, v9
	v_cmp_ge_u32_e32 vcc_lo, v8, v0
	s_delay_alu instid0(VALU_DEP_2) | instskip(NEXT) | instid1(VALU_DEP_1)
	v_add_nc_u32_e32 v9, 1, v1
	v_cndmask_b32_e32 v12, v1, v9, vcc_lo
.LBB42_6:
	s_or_b32 exec_lo, exec_lo, s0
	global_store_b64 v[6:7], v[12:13], off
	global_load_b64 v[8:9], v[4:5], off
.LBB42_7:
	s_wait_xcnt 0x0
	s_or_b32 exec_lo, exec_lo, s1
	global_load_b64 v[0:1], v[6:7], off offset:16
	s_wait_loadcnt 0x0
	v_mul_u64_e32 v[0:1], v[0:1], v[8:9]
	global_store_b128 v[4:5], v[0:3], off
.LBB42_8:
	s_endpgm
	.section	.rodata,"a",@progbits
	.p2align	6, 0x0
	.amdhsa_kernel _Z17testOperationsGPUI15HIP_vector_typeIyLj3EES0_IyLj1EEEvPT_S4_i
		.amdhsa_group_segment_fixed_size 0
		.amdhsa_private_segment_fixed_size 0
		.amdhsa_kernarg_size 20
		.amdhsa_user_sgpr_count 2
		.amdhsa_user_sgpr_dispatch_ptr 0
		.amdhsa_user_sgpr_queue_ptr 0
		.amdhsa_user_sgpr_kernarg_segment_ptr 1
		.amdhsa_user_sgpr_dispatch_id 0
		.amdhsa_user_sgpr_kernarg_preload_length 0
		.amdhsa_user_sgpr_kernarg_preload_offset 0
		.amdhsa_user_sgpr_private_segment_size 0
		.amdhsa_wavefront_size32 1
		.amdhsa_uses_dynamic_stack 0
		.amdhsa_enable_private_segment 0
		.amdhsa_system_sgpr_workgroup_id_x 1
		.amdhsa_system_sgpr_workgroup_id_y 0
		.amdhsa_system_sgpr_workgroup_id_z 0
		.amdhsa_system_sgpr_workgroup_info 0
		.amdhsa_system_vgpr_workitem_id 0
		.amdhsa_next_free_vgpr 28
		.amdhsa_next_free_sgpr 4
		.amdhsa_named_barrier_count 0
		.amdhsa_reserve_vcc 1
		.amdhsa_float_round_mode_32 0
		.amdhsa_float_round_mode_16_64 0
		.amdhsa_float_denorm_mode_32 3
		.amdhsa_float_denorm_mode_16_64 3
		.amdhsa_fp16_overflow 0
		.amdhsa_memory_ordered 1
		.amdhsa_forward_progress 1
		.amdhsa_inst_pref_size 9
		.amdhsa_round_robin_scheduling 0
		.amdhsa_exception_fp_ieee_invalid_op 0
		.amdhsa_exception_fp_denorm_src 0
		.amdhsa_exception_fp_ieee_div_zero 0
		.amdhsa_exception_fp_ieee_overflow 0
		.amdhsa_exception_fp_ieee_underflow 0
		.amdhsa_exception_fp_ieee_inexact 0
		.amdhsa_exception_int_div_zero 0
	.end_amdhsa_kernel
	.section	.text._Z17testOperationsGPUI15HIP_vector_typeIyLj3EES0_IyLj1EEEvPT_S4_i,"axG",@progbits,_Z17testOperationsGPUI15HIP_vector_typeIyLj3EES0_IyLj1EEEvPT_S4_i,comdat
.Lfunc_end42:
	.size	_Z17testOperationsGPUI15HIP_vector_typeIyLj3EES0_IyLj1EEEvPT_S4_i, .Lfunc_end42-_Z17testOperationsGPUI15HIP_vector_typeIyLj3EES0_IyLj1EEEvPT_S4_i
                                        ; -- End function
	.set _Z17testOperationsGPUI15HIP_vector_typeIyLj3EES0_IyLj1EEEvPT_S4_i.num_vgpr, 28
	.set _Z17testOperationsGPUI15HIP_vector_typeIyLj3EES0_IyLj1EEEvPT_S4_i.num_agpr, 0
	.set _Z17testOperationsGPUI15HIP_vector_typeIyLj3EES0_IyLj1EEEvPT_S4_i.numbered_sgpr, 4
	.set _Z17testOperationsGPUI15HIP_vector_typeIyLj3EES0_IyLj1EEEvPT_S4_i.num_named_barrier, 0
	.set _Z17testOperationsGPUI15HIP_vector_typeIyLj3EES0_IyLj1EEEvPT_S4_i.private_seg_size, 0
	.set _Z17testOperationsGPUI15HIP_vector_typeIyLj3EES0_IyLj1EEEvPT_S4_i.uses_vcc, 1
	.set _Z17testOperationsGPUI15HIP_vector_typeIyLj3EES0_IyLj1EEEvPT_S4_i.uses_flat_scratch, 0
	.set _Z17testOperationsGPUI15HIP_vector_typeIyLj3EES0_IyLj1EEEvPT_S4_i.has_dyn_sized_stack, 0
	.set _Z17testOperationsGPUI15HIP_vector_typeIyLj3EES0_IyLj1EEEvPT_S4_i.has_recursion, 0
	.set _Z17testOperationsGPUI15HIP_vector_typeIyLj3EES0_IyLj1EEEvPT_S4_i.has_indirect_call, 0
	.section	.AMDGPU.csdata,"",@progbits
; Kernel info:
; codeLenInByte = 1064
; TotalNumSgprs: 6
; NumVgprs: 28
; ScratchSize: 0
; MemoryBound: 0
; FloatMode: 240
; IeeeMode: 1
; LDSByteSize: 0 bytes/workgroup (compile time only)
; SGPRBlocks: 0
; VGPRBlocks: 1
; NumSGPRsForWavesPerEU: 6
; NumVGPRsForWavesPerEU: 28
; NamedBarCnt: 0
; Occupancy: 16
; WaveLimiterHint : 0
; COMPUTE_PGM_RSRC2:SCRATCH_EN: 0
; COMPUTE_PGM_RSRC2:USER_SGPR: 2
; COMPUTE_PGM_RSRC2:TRAP_HANDLER: 0
; COMPUTE_PGM_RSRC2:TGID_X_EN: 1
; COMPUTE_PGM_RSRC2:TGID_Y_EN: 0
; COMPUTE_PGM_RSRC2:TGID_Z_EN: 0
; COMPUTE_PGM_RSRC2:TIDIG_COMP_CNT: 0
	.section	.text._Z17testOperationsGPUI15HIP_vector_typeIyLj4EES0_IyLj1EEEvPT_S4_i,"axG",@progbits,_Z17testOperationsGPUI15HIP_vector_typeIyLj4EES0_IyLj1EEEvPT_S4_i,comdat
	.protected	_Z17testOperationsGPUI15HIP_vector_typeIyLj4EES0_IyLj1EEEvPT_S4_i ; -- Begin function _Z17testOperationsGPUI15HIP_vector_typeIyLj4EES0_IyLj1EEEvPT_S4_i
	.globl	_Z17testOperationsGPUI15HIP_vector_typeIyLj4EES0_IyLj1EEEvPT_S4_i
	.p2align	8
	.type	_Z17testOperationsGPUI15HIP_vector_typeIyLj4EES0_IyLj1EEEvPT_S4_i,@function
_Z17testOperationsGPUI15HIP_vector_typeIyLj4EES0_IyLj1EEEvPT_S4_i: ; @_Z17testOperationsGPUI15HIP_vector_typeIyLj4EES0_IyLj1EEEvPT_S4_i
; %bb.0:
	s_load_b32 s2, s[0:1], 0x10
	s_wait_kmcnt 0x0
	v_cmp_ge_i32_e32 vcc_lo, s2, v0
	s_and_saveexec_b32 s2, vcc_lo
	s_cbranch_execz .LBB43_8
; %bb.1:
	s_load_b128 s[0:3], s[0:1], 0x0
	v_dual_mov_b32 v11, 0 :: v_dual_lshlrev_b32 v10, 5, v0
	v_mov_b64_e32 v[8:9], 0
	s_wait_kmcnt 0x0
	s_clause 0x1
	global_load_b64 v[0:1], v10, s[2:3]
	global_load_b64 v[2:3], v10, s[0:1]
	v_add_nc_u64_e32 v[4:5], s[0:1], v[10:11]
	v_add_nc_u64_e32 v[6:7], s[2:3], v[10:11]
	s_wait_loadcnt 0x0
	v_add_nc_u64_e32 v[0:1], v[0:1], v[2:3]
	s_delay_alu instid0(VALU_DEP_1)
	v_add_nc_u64_e32 v[0:1], 1, v[0:1]
	s_clause 0x1
	global_store_b64 v10, v[0:1], s[0:1]
	global_load_b64 v[2:3], v10, s[2:3]
	s_wait_loadcnt 0x0
	v_add_nc_u64_e32 v[12:13], 1, v[2:3]
	s_clause 0x2
	global_store_b64 v10, v[12:13], s[0:1] offset:8
	global_load_b64 v[0:1], v10, s[2:3] offset:8
	global_store_b64 v10, v[12:13], s[2:3]
	s_wait_loadcnt 0x0
	global_store_b64 v10, v[0:1], s[0:1]
	s_wait_xcnt 0x0
	s_mov_b32 s1, exec_lo
	v_cmpx_ne_u64_e32 0, v[0:1]
	s_cbranch_execz .LBB43_7
; %bb.2:
	global_load_b64 v[8:9], v[6:7], off
	s_mov_b32 s0, exec_lo
	v_mov_b32_e32 v12, v11
                                        ; implicit-def: $vgpr10_vgpr11
	s_wait_loadcnt 0x0
	v_or_b32_e32 v13, v9, v1
	s_wait_xcnt 0x0
	s_delay_alu instid0(VALU_DEP_1)
	v_cmpx_ne_u64_e32 0, v[12:13]
	s_xor_b32 s2, exec_lo, s0
	s_cbranch_execz .LBB43_4
; %bb.3:
	v_cvt_f32_u32_e32 v10, v0
	v_cvt_f32_u32_e32 v11, v1
	v_sub_nc_u64_e32 v[12:13], 0, v[0:1]
	s_delay_alu instid0(VALU_DEP_2) | instskip(NEXT) | instid1(VALU_DEP_1)
	v_fmamk_f32 v10, v11, 0x4f800000, v10
	v_rcp_f32_e32 v10, v10
	v_nop
	s_delay_alu instid0(TRANS32_DEP_1) | instskip(NEXT) | instid1(VALU_DEP_1)
	v_mul_f32_e32 v10, 0x5f7ffffc, v10
	v_mul_f32_e32 v11, 0x2f800000, v10
	s_delay_alu instid0(VALU_DEP_1) | instskip(NEXT) | instid1(VALU_DEP_1)
	v_trunc_f32_e32 v11, v11
	v_fmamk_f32 v10, v11, 0xcf800000, v10
	v_cvt_u32_f32_e32 v15, v11
	s_delay_alu instid0(VALU_DEP_1) | instskip(NEXT) | instid1(VALU_DEP_1)
	v_dual_mov_b32 v11, 0 :: v_dual_mov_b32 v20, v15
	v_mov_b32_e32 v21, v11
	s_delay_alu instid0(VALU_DEP_4) | instskip(NEXT) | instid1(VALU_DEP_1)
	v_cvt_u32_f32_e32 v10, v10
	v_dual_mov_b32 v19, v11 :: v_dual_mov_b32 v14, v10
	s_delay_alu instid0(VALU_DEP_1) | instskip(NEXT) | instid1(VALU_DEP_1)
	v_mul_u64_e32 v[16:17], v[12:13], v[14:15]
	v_dual_mov_b32 v18, v17 :: v_dual_mov_b32 v17, v11
	s_delay_alu instid0(VALU_DEP_1) | instskip(NEXT) | instid1(VALU_DEP_2)
	v_mul_u64_e32 v[22:23], v[10:11], v[18:19]
	v_mul_u64_e32 v[24:25], v[20:21], v[16:17]
	;; [unrolled: 1-line block ×3, first 2 shown]
	v_mul_hi_u32 v16, v10, v16
	s_delay_alu instid0(VALU_DEP_1) | instskip(NEXT) | instid1(VALU_DEP_1)
	v_add_nc_u64_e32 v[16:17], v[16:17], v[22:23]
	v_add_co_u32 v14, vcc_lo, v16, v24
	s_delay_alu instid0(VALU_DEP_2) | instskip(SKIP_1) | instid1(VALU_DEP_1)
	v_add_co_ci_u32_e32 v20, vcc_lo, v17, v25, vcc_lo
	v_add_co_ci_u32_e32 v19, vcc_lo, 0, v19, vcc_lo
	v_add_nc_u64_e32 v[16:17], v[20:21], v[18:19]
	s_delay_alu instid0(VALU_DEP_1) | instskip(NEXT) | instid1(VALU_DEP_1)
	v_add_co_u32 v14, vcc_lo, v10, v16
	v_add_co_ci_u32_e64 v10, null, v15, v17, vcc_lo
	s_delay_alu instid0(VALU_DEP_1) | instskip(NEXT) | instid1(VALU_DEP_1)
	v_dual_mov_b32 v17, v11 :: v_dual_mov_b32 v15, v10
	v_mul_u64_e32 v[12:13], v[12:13], v[14:15]
	s_delay_alu instid0(VALU_DEP_1) | instskip(NEXT) | instid1(VALU_DEP_2)
	v_dual_mov_b32 v15, v11 :: v_dual_mov_b32 v16, v13
	v_mov_b32_e32 v20, v12
	v_mul_hi_u32 v12, v14, v12
	v_mov_b32_e32 v13, v11
	s_delay_alu instid0(VALU_DEP_4) | instskip(NEXT) | instid1(VALU_DEP_4)
	v_mul_u64_e32 v[18:19], v[14:15], v[16:17]
	v_mul_u64_e32 v[20:21], v[10:11], v[20:21]
	;; [unrolled: 1-line block ×3, first 2 shown]
	s_delay_alu instid0(VALU_DEP_3) | instskip(SKIP_1) | instid1(VALU_DEP_2)
	v_add_nc_u64_e32 v[12:13], v[12:13], v[18:19]
	v_mov_b32_e32 v19, v11
	v_add_co_u32 v12, vcc_lo, v12, v20
	s_delay_alu instid0(VALU_DEP_3) | instskip(SKIP_1) | instid1(VALU_DEP_1)
	v_add_co_ci_u32_e32 v18, vcc_lo, v13, v21, vcc_lo
	v_add_co_ci_u32_e32 v17, vcc_lo, 0, v17, vcc_lo
	v_add_nc_u64_e32 v[12:13], v[18:19], v[16:17]
	v_dual_mov_b32 v16, v8 :: v_dual_mov_b32 v17, v11
	s_delay_alu instid0(VALU_DEP_2) | instskip(NEXT) | instid1(VALU_DEP_1)
	v_add_co_u32 v12, vcc_lo, v14, v12
	v_add_co_ci_u32_e64 v10, null, v10, v13, vcc_lo
	v_dual_mov_b32 v14, v9 :: v_dual_mov_b32 v13, v11
	s_delay_alu instid0(VALU_DEP_2) | instskip(NEXT) | instid1(VALU_DEP_2)
	v_mul_u64_e32 v[16:17], v[16:17], v[10:11]
	v_mul_u64_e32 v[18:19], v[14:15], v[12:13]
	v_mul_u64_e32 v[14:15], v[14:15], v[10:11]
	v_mul_hi_u32 v12, v8, v12
	s_delay_alu instid0(VALU_DEP_1) | instskip(NEXT) | instid1(VALU_DEP_1)
	v_add_nc_u64_e32 v[12:13], v[12:13], v[16:17]
	v_add_co_u32 v10, vcc_lo, v12, v18
	s_delay_alu instid0(VALU_DEP_2) | instskip(SKIP_1) | instid1(VALU_DEP_1)
	v_add_co_ci_u32_e32 v10, vcc_lo, v13, v19, vcc_lo
	v_add_co_ci_u32_e32 v15, vcc_lo, 0, v15, vcc_lo
	v_add_nc_u64_e32 v[10:11], v[10:11], v[14:15]
	s_delay_alu instid0(VALU_DEP_1) | instskip(NEXT) | instid1(VALU_DEP_1)
	v_mul_u64_e32 v[12:13], v[0:1], v[10:11]
	v_sub_nc_u32_e32 v14, v9, v13
	s_delay_alu instid0(VALU_DEP_2) | instskip(NEXT) | instid1(VALU_DEP_1)
	v_sub_co_u32 v8, vcc_lo, v8, v12
	v_sub_co_ci_u32_e64 v13, null, v9, v13, vcc_lo
	s_delay_alu instid0(VALU_DEP_3) | instskip(NEXT) | instid1(VALU_DEP_3)
	v_sub_co_ci_u32_e64 v12, null, v14, v1, vcc_lo
	v_sub_co_u32 v16, s0, v8, v0
	v_cmp_ge_u32_e32 vcc_lo, v8, v0
	s_delay_alu instid0(VALU_DEP_3) | instskip(NEXT) | instid1(VALU_DEP_3)
	v_subrev_co_ci_u32_e64 v12, null, 0, v12, s0
	v_cmp_ge_u32_e64 s0, v16, v0
	v_add_nc_u64_e32 v[14:15], 2, v[10:11]
	v_cndmask_b32_e64 v0, 0, -1, vcc_lo
	s_delay_alu instid0(VALU_DEP_4) | instskip(SKIP_3) | instid1(VALU_DEP_1)
	v_cmp_eq_u32_e32 vcc_lo, v12, v1
	v_add_nc_u64_e32 v[8:9], 1, v[10:11]
	v_cndmask_b32_e64 v16, 0, -1, s0
	v_cmp_ge_u32_e64 s0, v12, v1
	v_cndmask_b32_e64 v17, 0, -1, s0
	v_cmp_eq_u32_e64 s0, v13, v1
	s_delay_alu instid0(VALU_DEP_2) | instskip(SKIP_2) | instid1(VALU_DEP_3)
	v_cndmask_b32_e32 v12, v17, v16, vcc_lo
	v_cmp_ge_u32_e32 vcc_lo, v13, v1
	v_cndmask_b32_e64 v16, 0, -1, vcc_lo
	v_cmp_ne_u32_e32 vcc_lo, 0, v12
	s_delay_alu instid0(VALU_DEP_2) | instskip(SKIP_1) | instid1(VALU_DEP_2)
	v_cndmask_b32_e64 v0, v16, v0, s0
	v_dual_cndmask_b32 v8, v8, v14 :: v_dual_cndmask_b32 v1, v9, v15
	v_cmp_ne_u32_e32 vcc_lo, 0, v0
	s_delay_alu instid0(VALU_DEP_2)
	v_dual_cndmask_b32 v10, v10, v8 :: v_dual_cndmask_b32 v11, v11, v1
                                        ; implicit-def: $vgpr0_vgpr1
                                        ; implicit-def: $vgpr8_vgpr9
.LBB43_4:
	s_and_not1_saveexec_b32 s0, s2
	s_cbranch_execz .LBB43_6
; %bb.5:
	v_cvt_f32_u32_e32 v1, v0
	v_dual_sub_nc_u32 v9, 0, v0 :: v_dual_mov_b32 v11, 0
	s_delay_alu instid0(VALU_DEP_2) | instskip(SKIP_1) | instid1(TRANS32_DEP_1)
	v_rcp_iflag_f32_e32 v1, v1
	v_nop
	v_mul_f32_e32 v1, 0x4f7ffffe, v1
	s_delay_alu instid0(VALU_DEP_1) | instskip(NEXT) | instid1(VALU_DEP_1)
	v_cvt_u32_f32_e32 v1, v1
	v_mul_lo_u32 v9, v9, v1
	s_delay_alu instid0(VALU_DEP_1) | instskip(NEXT) | instid1(VALU_DEP_1)
	v_mul_hi_u32 v9, v1, v9
	v_add_nc_u32_e32 v1, v1, v9
	s_delay_alu instid0(VALU_DEP_1) | instskip(NEXT) | instid1(VALU_DEP_1)
	v_mul_hi_u32 v1, v8, v1
	v_mul_lo_u32 v9, v1, v0
	s_delay_alu instid0(VALU_DEP_1) | instskip(NEXT) | instid1(VALU_DEP_1)
	v_sub_nc_u32_e32 v8, v8, v9
	v_dual_add_nc_u32 v9, 1, v1 :: v_dual_sub_nc_u32 v10, v8, v0
	v_cmp_ge_u32_e32 vcc_lo, v8, v0
	s_delay_alu instid0(VALU_DEP_2) | instskip(NEXT) | instid1(VALU_DEP_1)
	v_dual_cndmask_b32 v8, v8, v10 :: v_dual_cndmask_b32 v1, v1, v9
	v_cmp_ge_u32_e32 vcc_lo, v8, v0
	s_delay_alu instid0(VALU_DEP_2) | instskip(NEXT) | instid1(VALU_DEP_1)
	v_add_nc_u32_e32 v9, 1, v1
	v_cndmask_b32_e32 v10, v1, v9, vcc_lo
.LBB43_6:
	s_or_b32 exec_lo, exec_lo, s0
	global_store_b64 v[6:7], v[10:11], off
	global_load_b64 v[8:9], v[4:5], off
.LBB43_7:
	s_wait_xcnt 0x0
	s_or_b32 exec_lo, exec_lo, s1
	global_load_b64 v[0:1], v[6:7], off offset:16
	s_wait_loadcnt 0x0
	v_mul_u64_e32 v[0:1], v[0:1], v[8:9]
	global_store_b128 v[4:5], v[0:3], off
	s_clause 0x1
	global_store_b64 v[6:7], v[0:1], off offset:24
	global_load_b64 v[0:1], v[6:7], off offset:8
	global_load_b64 v[2:3], v[4:5], off offset:24
	s_wait_loadcnt 0x0
	v_sub_nc_u64_e32 v[0:1], v[2:3], v[0:1]
	global_store_b64 v[4:5], v[0:1], off offset:24
.LBB43_8:
	s_endpgm
	.section	.rodata,"a",@progbits
	.p2align	6, 0x0
	.amdhsa_kernel _Z17testOperationsGPUI15HIP_vector_typeIyLj4EES0_IyLj1EEEvPT_S4_i
		.amdhsa_group_segment_fixed_size 0
		.amdhsa_private_segment_fixed_size 0
		.amdhsa_kernarg_size 20
		.amdhsa_user_sgpr_count 2
		.amdhsa_user_sgpr_dispatch_ptr 0
		.amdhsa_user_sgpr_queue_ptr 0
		.amdhsa_user_sgpr_kernarg_segment_ptr 1
		.amdhsa_user_sgpr_dispatch_id 0
		.amdhsa_user_sgpr_kernarg_preload_length 0
		.amdhsa_user_sgpr_kernarg_preload_offset 0
		.amdhsa_user_sgpr_private_segment_size 0
		.amdhsa_wavefront_size32 1
		.amdhsa_uses_dynamic_stack 0
		.amdhsa_enable_private_segment 0
		.amdhsa_system_sgpr_workgroup_id_x 1
		.amdhsa_system_sgpr_workgroup_id_y 0
		.amdhsa_system_sgpr_workgroup_id_z 0
		.amdhsa_system_sgpr_workgroup_info 0
		.amdhsa_system_vgpr_workitem_id 0
		.amdhsa_next_free_vgpr 26
		.amdhsa_next_free_sgpr 4
		.amdhsa_named_barrier_count 0
		.amdhsa_reserve_vcc 1
		.amdhsa_float_round_mode_32 0
		.amdhsa_float_round_mode_16_64 0
		.amdhsa_float_denorm_mode_32 3
		.amdhsa_float_denorm_mode_16_64 3
		.amdhsa_fp16_overflow 0
		.amdhsa_memory_ordered 1
		.amdhsa_forward_progress 1
		.amdhsa_inst_pref_size 9
		.amdhsa_round_robin_scheduling 0
		.amdhsa_exception_fp_ieee_invalid_op 0
		.amdhsa_exception_fp_denorm_src 0
		.amdhsa_exception_fp_ieee_div_zero 0
		.amdhsa_exception_fp_ieee_overflow 0
		.amdhsa_exception_fp_ieee_underflow 0
		.amdhsa_exception_fp_ieee_inexact 0
		.amdhsa_exception_int_div_zero 0
	.end_amdhsa_kernel
	.section	.text._Z17testOperationsGPUI15HIP_vector_typeIyLj4EES0_IyLj1EEEvPT_S4_i,"axG",@progbits,_Z17testOperationsGPUI15HIP_vector_typeIyLj4EES0_IyLj1EEEvPT_S4_i,comdat
.Lfunc_end43:
	.size	_Z17testOperationsGPUI15HIP_vector_typeIyLj4EES0_IyLj1EEEvPT_S4_i, .Lfunc_end43-_Z17testOperationsGPUI15HIP_vector_typeIyLj4EES0_IyLj1EEEvPT_S4_i
                                        ; -- End function
	.set _Z17testOperationsGPUI15HIP_vector_typeIyLj4EES0_IyLj1EEEvPT_S4_i.num_vgpr, 26
	.set _Z17testOperationsGPUI15HIP_vector_typeIyLj4EES0_IyLj1EEEvPT_S4_i.num_agpr, 0
	.set _Z17testOperationsGPUI15HIP_vector_typeIyLj4EES0_IyLj1EEEvPT_S4_i.numbered_sgpr, 4
	.set _Z17testOperationsGPUI15HIP_vector_typeIyLj4EES0_IyLj1EEEvPT_S4_i.num_named_barrier, 0
	.set _Z17testOperationsGPUI15HIP_vector_typeIyLj4EES0_IyLj1EEEvPT_S4_i.private_seg_size, 0
	.set _Z17testOperationsGPUI15HIP_vector_typeIyLj4EES0_IyLj1EEEvPT_S4_i.uses_vcc, 1
	.set _Z17testOperationsGPUI15HIP_vector_typeIyLj4EES0_IyLj1EEEvPT_S4_i.uses_flat_scratch, 0
	.set _Z17testOperationsGPUI15HIP_vector_typeIyLj4EES0_IyLj1EEEvPT_S4_i.has_dyn_sized_stack, 0
	.set _Z17testOperationsGPUI15HIP_vector_typeIyLj4EES0_IyLj1EEEvPT_S4_i.has_recursion, 0
	.set _Z17testOperationsGPUI15HIP_vector_typeIyLj4EES0_IyLj1EEEvPT_S4_i.has_indirect_call, 0
	.section	.AMDGPU.csdata,"",@progbits
; Kernel info:
; codeLenInByte = 1116
; TotalNumSgprs: 6
; NumVgprs: 26
; ScratchSize: 0
; MemoryBound: 0
; FloatMode: 240
; IeeeMode: 1
; LDSByteSize: 0 bytes/workgroup (compile time only)
; SGPRBlocks: 0
; VGPRBlocks: 1
; NumSGPRsForWavesPerEU: 6
; NumVGPRsForWavesPerEU: 26
; NamedBarCnt: 0
; Occupancy: 16
; WaveLimiterHint : 0
; COMPUTE_PGM_RSRC2:SCRATCH_EN: 0
; COMPUTE_PGM_RSRC2:USER_SGPR: 2
; COMPUTE_PGM_RSRC2:TRAP_HANDLER: 0
; COMPUTE_PGM_RSRC2:TGID_X_EN: 1
; COMPUTE_PGM_RSRC2:TGID_Y_EN: 0
; COMPUTE_PGM_RSRC2:TGID_Z_EN: 0
; COMPUTE_PGM_RSRC2:TIDIG_COMP_CNT: 0
	.section	.text._Z17testOperationsGPUI15HIP_vector_typeItLj1EES1_EvPT_S3_i,"axG",@progbits,_Z17testOperationsGPUI15HIP_vector_typeItLj1EES1_EvPT_S3_i,comdat
	.protected	_Z17testOperationsGPUI15HIP_vector_typeItLj1EES1_EvPT_S3_i ; -- Begin function _Z17testOperationsGPUI15HIP_vector_typeItLj1EES1_EvPT_S3_i
	.globl	_Z17testOperationsGPUI15HIP_vector_typeItLj1EES1_EvPT_S3_i
	.p2align	8
	.type	_Z17testOperationsGPUI15HIP_vector_typeItLj1EES1_EvPT_S3_i,@function
_Z17testOperationsGPUI15HIP_vector_typeItLj1EES1_EvPT_S3_i: ; @_Z17testOperationsGPUI15HIP_vector_typeItLj1EES1_EvPT_S3_i
; %bb.0:
	s_load_b32 s2, s[0:1], 0x10
	s_wait_kmcnt 0x0
	v_cmp_ge_i32_e32 vcc_lo, s2, v0
	s_and_saveexec_b32 s2, vcc_lo
	s_cbranch_execz .LBB44_2
; %bb.1:
	s_load_b128 s[0:3], s[0:1], 0x0
	s_wait_kmcnt 0x0
	s_clause 0x1
	global_load_u16 v1, v0, s[2:3] scale_offset
	global_load_u16 v2, v0, s[0:1] scale_offset
	s_wait_loadcnt 0x0
	v_add_nc_u16 v1, v1, v2
	s_delay_alu instid0(VALU_DEP_1)
	v_add_nc_u16 v1, v1, 1
	s_clause 0x1
	global_store_b16 v0, v1, s[0:1] scale_offset
	global_load_u16 v1, v0, s[2:3] scale_offset
	s_wait_loadcnt 0x0
	v_add_nc_u16 v1, v1, 1
	global_store_b16 v0, v1, s[2:3] scale_offset
.LBB44_2:
	s_endpgm
	.section	.rodata,"a",@progbits
	.p2align	6, 0x0
	.amdhsa_kernel _Z17testOperationsGPUI15HIP_vector_typeItLj1EES1_EvPT_S3_i
		.amdhsa_group_segment_fixed_size 0
		.amdhsa_private_segment_fixed_size 0
		.amdhsa_kernarg_size 20
		.amdhsa_user_sgpr_count 2
		.amdhsa_user_sgpr_dispatch_ptr 0
		.amdhsa_user_sgpr_queue_ptr 0
		.amdhsa_user_sgpr_kernarg_segment_ptr 1
		.amdhsa_user_sgpr_dispatch_id 0
		.amdhsa_user_sgpr_kernarg_preload_length 0
		.amdhsa_user_sgpr_kernarg_preload_offset 0
		.amdhsa_user_sgpr_private_segment_size 0
		.amdhsa_wavefront_size32 1
		.amdhsa_uses_dynamic_stack 0
		.amdhsa_enable_private_segment 0
		.amdhsa_system_sgpr_workgroup_id_x 1
		.amdhsa_system_sgpr_workgroup_id_y 0
		.amdhsa_system_sgpr_workgroup_id_z 0
		.amdhsa_system_sgpr_workgroup_info 0
		.amdhsa_system_vgpr_workitem_id 0
		.amdhsa_next_free_vgpr 3
		.amdhsa_next_free_sgpr 4
		.amdhsa_named_barrier_count 0
		.amdhsa_reserve_vcc 1
		.amdhsa_float_round_mode_32 0
		.amdhsa_float_round_mode_16_64 0
		.amdhsa_float_denorm_mode_32 3
		.amdhsa_float_denorm_mode_16_64 3
		.amdhsa_fp16_overflow 0
		.amdhsa_memory_ordered 1
		.amdhsa_forward_progress 1
		.amdhsa_inst_pref_size 2
		.amdhsa_round_robin_scheduling 0
		.amdhsa_exception_fp_ieee_invalid_op 0
		.amdhsa_exception_fp_denorm_src 0
		.amdhsa_exception_fp_ieee_div_zero 0
		.amdhsa_exception_fp_ieee_overflow 0
		.amdhsa_exception_fp_ieee_underflow 0
		.amdhsa_exception_fp_ieee_inexact 0
		.amdhsa_exception_int_div_zero 0
	.end_amdhsa_kernel
	.section	.text._Z17testOperationsGPUI15HIP_vector_typeItLj1EES1_EvPT_S3_i,"axG",@progbits,_Z17testOperationsGPUI15HIP_vector_typeItLj1EES1_EvPT_S3_i,comdat
.Lfunc_end44:
	.size	_Z17testOperationsGPUI15HIP_vector_typeItLj1EES1_EvPT_S3_i, .Lfunc_end44-_Z17testOperationsGPUI15HIP_vector_typeItLj1EES1_EvPT_S3_i
                                        ; -- End function
	.set _Z17testOperationsGPUI15HIP_vector_typeItLj1EES1_EvPT_S3_i.num_vgpr, 3
	.set _Z17testOperationsGPUI15HIP_vector_typeItLj1EES1_EvPT_S3_i.num_agpr, 0
	.set _Z17testOperationsGPUI15HIP_vector_typeItLj1EES1_EvPT_S3_i.numbered_sgpr, 4
	.set _Z17testOperationsGPUI15HIP_vector_typeItLj1EES1_EvPT_S3_i.num_named_barrier, 0
	.set _Z17testOperationsGPUI15HIP_vector_typeItLj1EES1_EvPT_S3_i.private_seg_size, 0
	.set _Z17testOperationsGPUI15HIP_vector_typeItLj1EES1_EvPT_S3_i.uses_vcc, 1
	.set _Z17testOperationsGPUI15HIP_vector_typeItLj1EES1_EvPT_S3_i.uses_flat_scratch, 0
	.set _Z17testOperationsGPUI15HIP_vector_typeItLj1EES1_EvPT_S3_i.has_dyn_sized_stack, 0
	.set _Z17testOperationsGPUI15HIP_vector_typeItLj1EES1_EvPT_S3_i.has_recursion, 0
	.set _Z17testOperationsGPUI15HIP_vector_typeItLj1EES1_EvPT_S3_i.has_indirect_call, 0
	.section	.AMDGPU.csdata,"",@progbits
; Kernel info:
; codeLenInByte = 144
; TotalNumSgprs: 6
; NumVgprs: 3
; ScratchSize: 0
; MemoryBound: 0
; FloatMode: 240
; IeeeMode: 1
; LDSByteSize: 0 bytes/workgroup (compile time only)
; SGPRBlocks: 0
; VGPRBlocks: 0
; NumSGPRsForWavesPerEU: 6
; NumVGPRsForWavesPerEU: 3
; NamedBarCnt: 0
; Occupancy: 16
; WaveLimiterHint : 0
; COMPUTE_PGM_RSRC2:SCRATCH_EN: 0
; COMPUTE_PGM_RSRC2:USER_SGPR: 2
; COMPUTE_PGM_RSRC2:TRAP_HANDLER: 0
; COMPUTE_PGM_RSRC2:TGID_X_EN: 1
; COMPUTE_PGM_RSRC2:TGID_Y_EN: 0
; COMPUTE_PGM_RSRC2:TGID_Z_EN: 0
; COMPUTE_PGM_RSRC2:TIDIG_COMP_CNT: 0
	.section	.text._Z17testOperationsGPUI15HIP_vector_typeItLj2EES0_ItLj1EEEvPT_S4_i,"axG",@progbits,_Z17testOperationsGPUI15HIP_vector_typeItLj2EES0_ItLj1EEEvPT_S4_i,comdat
	.protected	_Z17testOperationsGPUI15HIP_vector_typeItLj2EES0_ItLj1EEEvPT_S4_i ; -- Begin function _Z17testOperationsGPUI15HIP_vector_typeItLj2EES0_ItLj1EEEvPT_S4_i
	.globl	_Z17testOperationsGPUI15HIP_vector_typeItLj2EES0_ItLj1EEEvPT_S4_i
	.p2align	8
	.type	_Z17testOperationsGPUI15HIP_vector_typeItLj2EES0_ItLj1EEEvPT_S4_i,@function
_Z17testOperationsGPUI15HIP_vector_typeItLj2EES0_ItLj1EEEvPT_S4_i: ; @_Z17testOperationsGPUI15HIP_vector_typeItLj2EES0_ItLj1EEEvPT_S4_i
; %bb.0:
	s_load_b32 s2, s[0:1], 0x10
	s_wait_kmcnt 0x0
	v_cmp_ge_i32_e32 vcc_lo, s2, v0
	s_and_saveexec_b32 s2, vcc_lo
	s_cbranch_execz .LBB45_2
; %bb.1:
	s_load_b128 s[0:3], s[0:1], 0x0
	v_lshlrev_b32_e32 v0, 2, v0
	s_wait_kmcnt 0x0
	s_clause 0x1
	global_load_u16 v1, v0, s[2:3]
	global_load_u16 v2, v0, s[0:1]
	s_wait_loadcnt 0x0
	v_add_nc_u16 v1, v1, v2
	s_delay_alu instid0(VALU_DEP_1)
	v_add_nc_u16 v1, v1, 1
	s_clause 0x1
	global_store_b16 v0, v1, s[0:1]
	global_load_u16 v1, v0, s[2:3]
	s_wait_loadcnt 0x0
	v_add_nc_u16 v1, v1, 1
	s_clause 0x2
	global_store_b16 v0, v1, s[0:1] offset:2
	global_load_u16 v2, v0, s[2:3] offset:2
	global_store_b16 v0, v1, s[2:3]
	s_wait_loadcnt 0x0
	global_store_b16 v0, v2, s[0:1]
.LBB45_2:
	s_endpgm
	.section	.rodata,"a",@progbits
	.p2align	6, 0x0
	.amdhsa_kernel _Z17testOperationsGPUI15HIP_vector_typeItLj2EES0_ItLj1EEEvPT_S4_i
		.amdhsa_group_segment_fixed_size 0
		.amdhsa_private_segment_fixed_size 0
		.amdhsa_kernarg_size 20
		.amdhsa_user_sgpr_count 2
		.amdhsa_user_sgpr_dispatch_ptr 0
		.amdhsa_user_sgpr_queue_ptr 0
		.amdhsa_user_sgpr_kernarg_segment_ptr 1
		.amdhsa_user_sgpr_dispatch_id 0
		.amdhsa_user_sgpr_kernarg_preload_length 0
		.amdhsa_user_sgpr_kernarg_preload_offset 0
		.amdhsa_user_sgpr_private_segment_size 0
		.amdhsa_wavefront_size32 1
		.amdhsa_uses_dynamic_stack 0
		.amdhsa_enable_private_segment 0
		.amdhsa_system_sgpr_workgroup_id_x 1
		.amdhsa_system_sgpr_workgroup_id_y 0
		.amdhsa_system_sgpr_workgroup_id_z 0
		.amdhsa_system_sgpr_workgroup_info 0
		.amdhsa_system_vgpr_workitem_id 0
		.amdhsa_next_free_vgpr 3
		.amdhsa_next_free_sgpr 4
		.amdhsa_named_barrier_count 0
		.amdhsa_reserve_vcc 1
		.amdhsa_float_round_mode_32 0
		.amdhsa_float_round_mode_16_64 0
		.amdhsa_float_denorm_mode_32 3
		.amdhsa_float_denorm_mode_16_64 3
		.amdhsa_fp16_overflow 0
		.amdhsa_memory_ordered 1
		.amdhsa_forward_progress 1
		.amdhsa_inst_pref_size 2
		.amdhsa_round_robin_scheduling 0
		.amdhsa_exception_fp_ieee_invalid_op 0
		.amdhsa_exception_fp_denorm_src 0
		.amdhsa_exception_fp_ieee_div_zero 0
		.amdhsa_exception_fp_ieee_overflow 0
		.amdhsa_exception_fp_ieee_underflow 0
		.amdhsa_exception_fp_ieee_inexact 0
		.amdhsa_exception_int_div_zero 0
	.end_amdhsa_kernel
	.section	.text._Z17testOperationsGPUI15HIP_vector_typeItLj2EES0_ItLj1EEEvPT_S4_i,"axG",@progbits,_Z17testOperationsGPUI15HIP_vector_typeItLj2EES0_ItLj1EEEvPT_S4_i,comdat
.Lfunc_end45:
	.size	_Z17testOperationsGPUI15HIP_vector_typeItLj2EES0_ItLj1EEEvPT_S4_i, .Lfunc_end45-_Z17testOperationsGPUI15HIP_vector_typeItLj2EES0_ItLj1EEEvPT_S4_i
                                        ; -- End function
	.set _Z17testOperationsGPUI15HIP_vector_typeItLj2EES0_ItLj1EEEvPT_S4_i.num_vgpr, 3
	.set _Z17testOperationsGPUI15HIP_vector_typeItLj2EES0_ItLj1EEEvPT_S4_i.num_agpr, 0
	.set _Z17testOperationsGPUI15HIP_vector_typeItLj2EES0_ItLj1EEEvPT_S4_i.numbered_sgpr, 4
	.set _Z17testOperationsGPUI15HIP_vector_typeItLj2EES0_ItLj1EEEvPT_S4_i.num_named_barrier, 0
	.set _Z17testOperationsGPUI15HIP_vector_typeItLj2EES0_ItLj1EEEvPT_S4_i.private_seg_size, 0
	.set _Z17testOperationsGPUI15HIP_vector_typeItLj2EES0_ItLj1EEEvPT_S4_i.uses_vcc, 1
	.set _Z17testOperationsGPUI15HIP_vector_typeItLj2EES0_ItLj1EEEvPT_S4_i.uses_flat_scratch, 0
	.set _Z17testOperationsGPUI15HIP_vector_typeItLj2EES0_ItLj1EEEvPT_S4_i.has_dyn_sized_stack, 0
	.set _Z17testOperationsGPUI15HIP_vector_typeItLj2EES0_ItLj1EEEvPT_S4_i.has_recursion, 0
	.set _Z17testOperationsGPUI15HIP_vector_typeItLj2EES0_ItLj1EEEvPT_S4_i.has_indirect_call, 0
	.section	.AMDGPU.csdata,"",@progbits
; Kernel info:
; codeLenInByte = 192
; TotalNumSgprs: 6
; NumVgprs: 3
; ScratchSize: 0
; MemoryBound: 0
; FloatMode: 240
; IeeeMode: 1
; LDSByteSize: 0 bytes/workgroup (compile time only)
; SGPRBlocks: 0
; VGPRBlocks: 0
; NumSGPRsForWavesPerEU: 6
; NumVGPRsForWavesPerEU: 3
; NamedBarCnt: 0
; Occupancy: 16
; WaveLimiterHint : 0
; COMPUTE_PGM_RSRC2:SCRATCH_EN: 0
; COMPUTE_PGM_RSRC2:USER_SGPR: 2
; COMPUTE_PGM_RSRC2:TRAP_HANDLER: 0
; COMPUTE_PGM_RSRC2:TGID_X_EN: 1
; COMPUTE_PGM_RSRC2:TGID_Y_EN: 0
; COMPUTE_PGM_RSRC2:TGID_Z_EN: 0
; COMPUTE_PGM_RSRC2:TIDIG_COMP_CNT: 0
	.section	.text._Z17testOperationsGPUI15HIP_vector_typeItLj3EES0_ItLj1EEEvPT_S4_i,"axG",@progbits,_Z17testOperationsGPUI15HIP_vector_typeItLj3EES0_ItLj1EEEvPT_S4_i,comdat
	.protected	_Z17testOperationsGPUI15HIP_vector_typeItLj3EES0_ItLj1EEEvPT_S4_i ; -- Begin function _Z17testOperationsGPUI15HIP_vector_typeItLj3EES0_ItLj1EEEvPT_S4_i
	.globl	_Z17testOperationsGPUI15HIP_vector_typeItLj3EES0_ItLj1EEEvPT_S4_i
	.p2align	8
	.type	_Z17testOperationsGPUI15HIP_vector_typeItLj3EES0_ItLj1EEEvPT_S4_i,@function
_Z17testOperationsGPUI15HIP_vector_typeItLj3EES0_ItLj1EEEvPT_S4_i: ; @_Z17testOperationsGPUI15HIP_vector_typeItLj3EES0_ItLj1EEEvPT_S4_i
; %bb.0:
	s_load_b32 s2, s[0:1], 0x10
	s_wait_kmcnt 0x0
	v_cmp_ge_i32_e32 vcc_lo, s2, v0
	s_and_saveexec_b32 s2, vcc_lo
	s_cbranch_execz .LBB46_4
; %bb.1:
	s_load_b128 s[0:3], s[0:1], 0x0
	s_wait_kmcnt 0x0
	v_mad_nc_u64_u32 v[2:3], v0, 6, s[2:3]
	v_mad_nc_u64_u32 v[0:1], v0, 6, s[0:1]
	s_mov_b32 s0, exec_lo
	global_load_u16 v4, v[2:3], off
	global_load_u16 v5, v[0:1], off
	s_wait_loadcnt 0x0
	v_add_nc_u16 v4, v4, v5
	v_mov_b32_e32 v5, 0
	s_delay_alu instid0(VALU_DEP_2)
	v_add_nc_u16 v4, v4, 1
	global_store_b16 v[0:1], v4, off
	global_load_u16 v4, v[2:3], off
	s_wait_loadcnt 0x0
	v_add_nc_u16 v7, v4, 1
	global_store_b16 v[0:1], v7, off offset:2
	s_clause 0x1
	global_load_u16 v6, v[2:3], off offset:2
	global_store_b16 v[2:3], v7, off
	s_wait_loadcnt 0x0
	global_store_b16 v[0:1], v6, off
	s_wait_xcnt 0x0
	v_cmpx_ne_u16_e32 0, v6
	s_cbranch_execz .LBB46_3
; %bb.2:
	global_load_u16 v5, v[2:3], off
	v_and_b32_e32 v6, 0xffff, v6
	s_delay_alu instid0(VALU_DEP_1) | instskip(NEXT) | instid1(VALU_DEP_1)
	v_cvt_f32_u32_e32 v6, v6
	v_rcp_iflag_f32_e32 v7, v6
	s_wait_loadcnt 0x0
	v_cvt_f32_u32_e32 v5, v5
	s_delay_alu instid0(TRANS32_DEP_1) | instid1(VALU_DEP_1)
	v_mul_f32_e32 v7, v5, v7
	s_delay_alu instid0(VALU_DEP_1) | instskip(NEXT) | instid1(VALU_DEP_1)
	v_trunc_f32_e32 v7, v7
	v_fma_f32 v5, -v7, v6, v5
	v_cvt_u32_f32_e32 v7, v7
	s_delay_alu instid0(VALU_DEP_2) | instskip(NEXT) | instid1(VALU_DEP_1)
	v_cmp_ge_f32_e64 vcc_lo, |v5|, v6
	v_add_co_ci_u32_e64 v5, null, 0, v7, vcc_lo
	global_store_b16 v[2:3], v5, off
	global_load_u16 v5, v[0:1], off
.LBB46_3:
	s_wait_xcnt 0x0
	s_or_b32 exec_lo, exec_lo, s0
	global_load_u16 v2, v[2:3], off offset:4
	s_wait_loadcnt 0x0
	v_mul_lo_u16 v2, v2, v5
	s_delay_alu instid0(VALU_DEP_1)
	v_perm_b32 v2, v4, v2, 0x5040100
	global_store_b32 v[0:1], v2, off
.LBB46_4:
	s_endpgm
	.section	.rodata,"a",@progbits
	.p2align	6, 0x0
	.amdhsa_kernel _Z17testOperationsGPUI15HIP_vector_typeItLj3EES0_ItLj1EEEvPT_S4_i
		.amdhsa_group_segment_fixed_size 0
		.amdhsa_private_segment_fixed_size 0
		.amdhsa_kernarg_size 20
		.amdhsa_user_sgpr_count 2
		.amdhsa_user_sgpr_dispatch_ptr 0
		.amdhsa_user_sgpr_queue_ptr 0
		.amdhsa_user_sgpr_kernarg_segment_ptr 1
		.amdhsa_user_sgpr_dispatch_id 0
		.amdhsa_user_sgpr_kernarg_preload_length 0
		.amdhsa_user_sgpr_kernarg_preload_offset 0
		.amdhsa_user_sgpr_private_segment_size 0
		.amdhsa_wavefront_size32 1
		.amdhsa_uses_dynamic_stack 0
		.amdhsa_enable_private_segment 0
		.amdhsa_system_sgpr_workgroup_id_x 1
		.amdhsa_system_sgpr_workgroup_id_y 0
		.amdhsa_system_sgpr_workgroup_id_z 0
		.amdhsa_system_sgpr_workgroup_info 0
		.amdhsa_system_vgpr_workitem_id 0
		.amdhsa_next_free_vgpr 8
		.amdhsa_next_free_sgpr 4
		.amdhsa_named_barrier_count 0
		.amdhsa_reserve_vcc 1
		.amdhsa_float_round_mode_32 0
		.amdhsa_float_round_mode_16_64 0
		.amdhsa_float_denorm_mode_32 3
		.amdhsa_float_denorm_mode_16_64 3
		.amdhsa_fp16_overflow 0
		.amdhsa_memory_ordered 1
		.amdhsa_forward_progress 1
		.amdhsa_inst_pref_size 4
		.amdhsa_round_robin_scheduling 0
		.amdhsa_exception_fp_ieee_invalid_op 0
		.amdhsa_exception_fp_denorm_src 0
		.amdhsa_exception_fp_ieee_div_zero 0
		.amdhsa_exception_fp_ieee_overflow 0
		.amdhsa_exception_fp_ieee_underflow 0
		.amdhsa_exception_fp_ieee_inexact 0
		.amdhsa_exception_int_div_zero 0
	.end_amdhsa_kernel
	.section	.text._Z17testOperationsGPUI15HIP_vector_typeItLj3EES0_ItLj1EEEvPT_S4_i,"axG",@progbits,_Z17testOperationsGPUI15HIP_vector_typeItLj3EES0_ItLj1EEEvPT_S4_i,comdat
.Lfunc_end46:
	.size	_Z17testOperationsGPUI15HIP_vector_typeItLj3EES0_ItLj1EEEvPT_S4_i, .Lfunc_end46-_Z17testOperationsGPUI15HIP_vector_typeItLj3EES0_ItLj1EEEvPT_S4_i
                                        ; -- End function
	.set _Z17testOperationsGPUI15HIP_vector_typeItLj3EES0_ItLj1EEEvPT_S4_i.num_vgpr, 8
	.set _Z17testOperationsGPUI15HIP_vector_typeItLj3EES0_ItLj1EEEvPT_S4_i.num_agpr, 0
	.set _Z17testOperationsGPUI15HIP_vector_typeItLj3EES0_ItLj1EEEvPT_S4_i.numbered_sgpr, 4
	.set _Z17testOperationsGPUI15HIP_vector_typeItLj3EES0_ItLj1EEEvPT_S4_i.num_named_barrier, 0
	.set _Z17testOperationsGPUI15HIP_vector_typeItLj3EES0_ItLj1EEEvPT_S4_i.private_seg_size, 0
	.set _Z17testOperationsGPUI15HIP_vector_typeItLj3EES0_ItLj1EEEvPT_S4_i.uses_vcc, 1
	.set _Z17testOperationsGPUI15HIP_vector_typeItLj3EES0_ItLj1EEEvPT_S4_i.uses_flat_scratch, 0
	.set _Z17testOperationsGPUI15HIP_vector_typeItLj3EES0_ItLj1EEEvPT_S4_i.has_dyn_sized_stack, 0
	.set _Z17testOperationsGPUI15HIP_vector_typeItLj3EES0_ItLj1EEEvPT_S4_i.has_recursion, 0
	.set _Z17testOperationsGPUI15HIP_vector_typeItLj3EES0_ItLj1EEEvPT_S4_i.has_indirect_call, 0
	.section	.AMDGPU.csdata,"",@progbits
; Kernel info:
; codeLenInByte = 388
; TotalNumSgprs: 6
; NumVgprs: 8
; ScratchSize: 0
; MemoryBound: 0
; FloatMode: 240
; IeeeMode: 1
; LDSByteSize: 0 bytes/workgroup (compile time only)
; SGPRBlocks: 0
; VGPRBlocks: 0
; NumSGPRsForWavesPerEU: 6
; NumVGPRsForWavesPerEU: 8
; NamedBarCnt: 0
; Occupancy: 16
; WaveLimiterHint : 0
; COMPUTE_PGM_RSRC2:SCRATCH_EN: 0
; COMPUTE_PGM_RSRC2:USER_SGPR: 2
; COMPUTE_PGM_RSRC2:TRAP_HANDLER: 0
; COMPUTE_PGM_RSRC2:TGID_X_EN: 1
; COMPUTE_PGM_RSRC2:TGID_Y_EN: 0
; COMPUTE_PGM_RSRC2:TGID_Z_EN: 0
; COMPUTE_PGM_RSRC2:TIDIG_COMP_CNT: 0
	.section	.text._Z17testOperationsGPUI15HIP_vector_typeItLj4EES0_ItLj1EEEvPT_S4_i,"axG",@progbits,_Z17testOperationsGPUI15HIP_vector_typeItLj4EES0_ItLj1EEEvPT_S4_i,comdat
	.protected	_Z17testOperationsGPUI15HIP_vector_typeItLj4EES0_ItLj1EEEvPT_S4_i ; -- Begin function _Z17testOperationsGPUI15HIP_vector_typeItLj4EES0_ItLj1EEEvPT_S4_i
	.globl	_Z17testOperationsGPUI15HIP_vector_typeItLj4EES0_ItLj1EEEvPT_S4_i
	.p2align	8
	.type	_Z17testOperationsGPUI15HIP_vector_typeItLj4EES0_ItLj1EEEvPT_S4_i,@function
_Z17testOperationsGPUI15HIP_vector_typeItLj4EES0_ItLj1EEEvPT_S4_i: ; @_Z17testOperationsGPUI15HIP_vector_typeItLj4EES0_ItLj1EEEvPT_S4_i
; %bb.0:
	s_load_b32 s2, s[0:1], 0x10
	s_wait_kmcnt 0x0
	v_cmp_ge_i32_e32 vcc_lo, s2, v0
	s_and_saveexec_b32 s2, vcc_lo
	s_cbranch_execz .LBB47_4
; %bb.1:
	s_load_b128 s[0:3], s[0:1], 0x0
	v_dual_mov_b32 v5, 0 :: v_dual_lshlrev_b32 v4, 3, v0
	s_wait_kmcnt 0x0
	s_clause 0x1
	global_load_u16 v0, v4, s[2:3]
	global_load_u16 v1, v4, s[0:1]
	v_add_nc_u64_e32 v[2:3], s[2:3], v[4:5]
	s_wait_loadcnt 0x0
	v_add_nc_u16 v0, v0, v1
	s_delay_alu instid0(VALU_DEP_1)
	v_add_nc_u16 v0, v0, 1
	s_clause 0x1
	global_store_b16 v4, v0, s[0:1]
	global_load_u16 v6, v4, s[2:3]
	s_wait_xcnt 0x1
	v_add_nc_u64_e32 v[0:1], s[0:1], v[4:5]
	s_wait_loadcnt 0x0
	v_add_nc_u16 v8, v6, 1
	s_clause 0x2
	global_store_b16 v4, v8, s[0:1] offset:2
	global_load_u16 v7, v4, s[2:3] offset:2
	global_store_b16 v4, v8, s[2:3]
	s_wait_loadcnt 0x0
	global_store_b16 v4, v7, s[0:1]
	s_wait_xcnt 0x0
	s_mov_b32 s0, exec_lo
	v_cmpx_ne_u16_e32 0, v7
	s_cbranch_execz .LBB47_3
; %bb.2:
	global_load_u16 v4, v[2:3], off
	v_and_b32_e32 v5, 0xffff, v7
	s_delay_alu instid0(VALU_DEP_1) | instskip(NEXT) | instid1(VALU_DEP_1)
	v_cvt_f32_u32_e32 v5, v5
	v_rcp_iflag_f32_e32 v7, v5
	s_wait_loadcnt 0x0
	v_cvt_f32_u32_e32 v4, v4
	s_delay_alu instid0(TRANS32_DEP_1) | instid1(VALU_DEP_1)
	v_mul_f32_e32 v7, v4, v7
	s_delay_alu instid0(VALU_DEP_1) | instskip(NEXT) | instid1(VALU_DEP_1)
	v_trunc_f32_e32 v7, v7
	v_fma_f32 v4, -v7, v5, v4
	v_cvt_u32_f32_e32 v7, v7
	s_delay_alu instid0(VALU_DEP_2) | instskip(NEXT) | instid1(VALU_DEP_1)
	v_cmp_ge_f32_e64 vcc_lo, |v4|, v5
	v_add_co_ci_u32_e64 v4, null, 0, v7, vcc_lo
	global_store_b16 v[2:3], v4, off
	global_load_u16 v5, v[0:1], off
.LBB47_3:
	s_wait_xcnt 0x0
	s_or_b32 exec_lo, exec_lo, s0
	global_load_u16 v4, v[2:3], off offset:4
	s_wait_loadcnt 0x0
	v_mul_lo_u16 v4, v4, v5
	s_delay_alu instid0(VALU_DEP_1)
	v_perm_b32 v5, v6, v4, 0x5040100
	global_store_b32 v[0:1], v5, off
	s_clause 0x1
	global_store_b16 v[2:3], v4, off offset:6
	global_load_u16 v4, v[2:3], off offset:2
	global_load_u16 v5, v[0:1], off offset:6
	s_wait_loadcnt 0x0
	s_wait_xcnt 0x1
	v_sub_nc_u16 v2, v5, v4
	global_store_b16 v[0:1], v2, off offset:6
.LBB47_4:
	s_endpgm
	.section	.rodata,"a",@progbits
	.p2align	6, 0x0
	.amdhsa_kernel _Z17testOperationsGPUI15HIP_vector_typeItLj4EES0_ItLj1EEEvPT_S4_i
		.amdhsa_group_segment_fixed_size 0
		.amdhsa_private_segment_fixed_size 0
		.amdhsa_kernarg_size 20
		.amdhsa_user_sgpr_count 2
		.amdhsa_user_sgpr_dispatch_ptr 0
		.amdhsa_user_sgpr_queue_ptr 0
		.amdhsa_user_sgpr_kernarg_segment_ptr 1
		.amdhsa_user_sgpr_dispatch_id 0
		.amdhsa_user_sgpr_kernarg_preload_length 0
		.amdhsa_user_sgpr_kernarg_preload_offset 0
		.amdhsa_user_sgpr_private_segment_size 0
		.amdhsa_wavefront_size32 1
		.amdhsa_uses_dynamic_stack 0
		.amdhsa_enable_private_segment 0
		.amdhsa_system_sgpr_workgroup_id_x 1
		.amdhsa_system_sgpr_workgroup_id_y 0
		.amdhsa_system_sgpr_workgroup_id_z 0
		.amdhsa_system_sgpr_workgroup_info 0
		.amdhsa_system_vgpr_workitem_id 0
		.amdhsa_next_free_vgpr 9
		.amdhsa_next_free_sgpr 4
		.amdhsa_named_barrier_count 0
		.amdhsa_reserve_vcc 1
		.amdhsa_float_round_mode_32 0
		.amdhsa_float_round_mode_16_64 0
		.amdhsa_float_denorm_mode_32 3
		.amdhsa_float_denorm_mode_16_64 3
		.amdhsa_fp16_overflow 0
		.amdhsa_memory_ordered 1
		.amdhsa_forward_progress 1
		.amdhsa_inst_pref_size 4
		.amdhsa_round_robin_scheduling 0
		.amdhsa_exception_fp_ieee_invalid_op 0
		.amdhsa_exception_fp_denorm_src 0
		.amdhsa_exception_fp_ieee_div_zero 0
		.amdhsa_exception_fp_ieee_overflow 0
		.amdhsa_exception_fp_ieee_underflow 0
		.amdhsa_exception_fp_ieee_inexact 0
		.amdhsa_exception_int_div_zero 0
	.end_amdhsa_kernel
	.section	.text._Z17testOperationsGPUI15HIP_vector_typeItLj4EES0_ItLj1EEEvPT_S4_i,"axG",@progbits,_Z17testOperationsGPUI15HIP_vector_typeItLj4EES0_ItLj1EEEvPT_S4_i,comdat
.Lfunc_end47:
	.size	_Z17testOperationsGPUI15HIP_vector_typeItLj4EES0_ItLj1EEEvPT_S4_i, .Lfunc_end47-_Z17testOperationsGPUI15HIP_vector_typeItLj4EES0_ItLj1EEEvPT_S4_i
                                        ; -- End function
	.set _Z17testOperationsGPUI15HIP_vector_typeItLj4EES0_ItLj1EEEvPT_S4_i.num_vgpr, 9
	.set _Z17testOperationsGPUI15HIP_vector_typeItLj4EES0_ItLj1EEEvPT_S4_i.num_agpr, 0
	.set _Z17testOperationsGPUI15HIP_vector_typeItLj4EES0_ItLj1EEEvPT_S4_i.numbered_sgpr, 4
	.set _Z17testOperationsGPUI15HIP_vector_typeItLj4EES0_ItLj1EEEvPT_S4_i.num_named_barrier, 0
	.set _Z17testOperationsGPUI15HIP_vector_typeItLj4EES0_ItLj1EEEvPT_S4_i.private_seg_size, 0
	.set _Z17testOperationsGPUI15HIP_vector_typeItLj4EES0_ItLj1EEEvPT_S4_i.uses_vcc, 1
	.set _Z17testOperationsGPUI15HIP_vector_typeItLj4EES0_ItLj1EEEvPT_S4_i.uses_flat_scratch, 0
	.set _Z17testOperationsGPUI15HIP_vector_typeItLj4EES0_ItLj1EEEvPT_S4_i.has_dyn_sized_stack, 0
	.set _Z17testOperationsGPUI15HIP_vector_typeItLj4EES0_ItLj1EEEvPT_S4_i.has_recursion, 0
	.set _Z17testOperationsGPUI15HIP_vector_typeItLj4EES0_ItLj1EEEvPT_S4_i.has_indirect_call, 0
	.section	.AMDGPU.csdata,"",@progbits
; Kernel info:
; codeLenInByte = 464
; TotalNumSgprs: 6
; NumVgprs: 9
; ScratchSize: 0
; MemoryBound: 0
; FloatMode: 240
; IeeeMode: 1
; LDSByteSize: 0 bytes/workgroup (compile time only)
; SGPRBlocks: 0
; VGPRBlocks: 0
; NumSGPRsForWavesPerEU: 6
; NumVGPRsForWavesPerEU: 9
; NamedBarCnt: 0
; Occupancy: 16
; WaveLimiterHint : 0
; COMPUTE_PGM_RSRC2:SCRATCH_EN: 0
; COMPUTE_PGM_RSRC2:USER_SGPR: 2
; COMPUTE_PGM_RSRC2:TRAP_HANDLER: 0
; COMPUTE_PGM_RSRC2:TGID_X_EN: 1
; COMPUTE_PGM_RSRC2:TGID_Y_EN: 0
; COMPUTE_PGM_RSRC2:TGID_Z_EN: 0
; COMPUTE_PGM_RSRC2:TIDIG_COMP_CNT: 0
	.section	.AMDGPU.gpr_maximums,"",@progbits
	.set amdgpu.max_num_vgpr, 0
	.set amdgpu.max_num_agpr, 0
	.set amdgpu.max_num_sgpr, 0
	.section	.AMDGPU.csdata,"",@progbits
	.type	__hip_cuid_a4b5227a47689c49,@object ; @__hip_cuid_a4b5227a47689c49
	.section	.bss,"aw",@nobits
	.globl	__hip_cuid_a4b5227a47689c49
__hip_cuid_a4b5227a47689c49:
	.byte	0                               ; 0x0
	.size	__hip_cuid_a4b5227a47689c49, 1

	.ident	"AMD clang version 22.0.0git (https://github.com/RadeonOpenCompute/llvm-project roc-7.2.4 26084 f58b06dce1f9c15707c5f808fd002e18c2accf7e)"
	.section	".note.GNU-stack","",@progbits
	.addrsig
	.addrsig_sym __hip_cuid_a4b5227a47689c49
	.amdgpu_metadata
---
amdhsa.kernels:
  - .args:
      - .address_space:  global
        .offset:         0
        .size:           8
        .value_kind:     global_buffer
      - .address_space:  global
        .offset:         8
        .size:           8
        .value_kind:     global_buffer
      - .offset:         16
        .size:           4
        .value_kind:     by_value
    .group_segment_fixed_size: 0
    .kernarg_segment_align: 8
    .kernarg_segment_size: 20
    .language:       OpenCL C
    .language_version:
      - 2
      - 0
    .max_flat_workgroup_size: 1024
    .name:           _Z17testOperationsGPUI15HIP_vector_typeIdLj1EES1_EvPT_S3_i
    .private_segment_fixed_size: 0
    .sgpr_count:     6
    .sgpr_spill_count: 0
    .symbol:         _Z17testOperationsGPUI15HIP_vector_typeIdLj1EES1_EvPT_S3_i.kd
    .uniform_work_group_size: 1
    .uses_dynamic_stack: false
    .vgpr_count:     6
    .vgpr_spill_count: 0
    .wavefront_size: 32
  - .args:
      - .address_space:  global
        .offset:         0
        .size:           8
        .value_kind:     global_buffer
      - .address_space:  global
        .offset:         8
        .size:           8
        .value_kind:     global_buffer
      - .offset:         16
        .size:           4
        .value_kind:     by_value
    .group_segment_fixed_size: 0
    .kernarg_segment_align: 8
    .kernarg_segment_size: 20
    .language:       OpenCL C
    .language_version:
      - 2
      - 0
    .max_flat_workgroup_size: 1024
    .name:           _Z17testOperationsGPUI15HIP_vector_typeIdLj2EES0_IdLj1EEEvPT_S4_i
    .private_segment_fixed_size: 0
    .sgpr_count:     6
    .sgpr_spill_count: 0
    .symbol:         _Z17testOperationsGPUI15HIP_vector_typeIdLj2EES0_IdLj1EEEvPT_S4_i.kd
    .uniform_work_group_size: 1
    .uses_dynamic_stack: false
    .vgpr_count:     5
    .vgpr_spill_count: 0
    .wavefront_size: 32
  - .args:
      - .address_space:  global
        .offset:         0
        .size:           8
        .value_kind:     global_buffer
      - .address_space:  global
        .offset:         8
        .size:           8
        .value_kind:     global_buffer
      - .offset:         16
        .size:           4
        .value_kind:     by_value
    .group_segment_fixed_size: 0
    .kernarg_segment_align: 8
    .kernarg_segment_size: 20
    .language:       OpenCL C
    .language_version:
      - 2
      - 0
    .max_flat_workgroup_size: 1024
    .name:           _Z17testOperationsGPUI15HIP_vector_typeIdLj3EES0_IdLj1EEEvPT_S4_i
    .private_segment_fixed_size: 0
    .sgpr_count:     6
    .sgpr_spill_count: 0
    .symbol:         _Z17testOperationsGPUI15HIP_vector_typeIdLj3EES0_IdLj1EEEvPT_S4_i.kd
    .uniform_work_group_size: 1
    .uses_dynamic_stack: false
    .vgpr_count:     18
    .vgpr_spill_count: 0
    .wavefront_size: 32
  - .args:
      - .address_space:  global
        .offset:         0
        .size:           8
        .value_kind:     global_buffer
      - .address_space:  global
        .offset:         8
        .size:           8
        .value_kind:     global_buffer
      - .offset:         16
        .size:           4
        .value_kind:     by_value
    .group_segment_fixed_size: 0
    .kernarg_segment_align: 8
    .kernarg_segment_size: 20
    .language:       OpenCL C
    .language_version:
      - 2
      - 0
    .max_flat_workgroup_size: 1024
    .name:           _Z17testOperationsGPUI15HIP_vector_typeIdLj4EES0_IdLj1EEEvPT_S4_i
    .private_segment_fixed_size: 0
    .sgpr_count:     6
    .sgpr_spill_count: 0
    .symbol:         _Z17testOperationsGPUI15HIP_vector_typeIdLj4EES0_IdLj1EEEvPT_S4_i.kd
    .uniform_work_group_size: 1
    .uses_dynamic_stack: false
    .vgpr_count:     18
    .vgpr_spill_count: 0
    .wavefront_size: 32
  - .args:
      - .address_space:  global
        .offset:         0
        .size:           8
        .value_kind:     global_buffer
      - .address_space:  global
        .offset:         8
        .size:           8
        .value_kind:     global_buffer
      - .offset:         16
        .size:           4
        .value_kind:     by_value
    .group_segment_fixed_size: 0
    .kernarg_segment_align: 8
    .kernarg_segment_size: 20
    .language:       OpenCL C
    .language_version:
      - 2
      - 0
    .max_flat_workgroup_size: 1024
    .name:           _Z17testOperationsGPUI15HIP_vector_typeIfLj1EES1_EvPT_S3_i
    .private_segment_fixed_size: 0
    .sgpr_count:     6
    .sgpr_spill_count: 0
    .symbol:         _Z17testOperationsGPUI15HIP_vector_typeIfLj1EES1_EvPT_S3_i.kd
    .uniform_work_group_size: 1
    .uses_dynamic_stack: false
    .vgpr_count:     3
    .vgpr_spill_count: 0
    .wavefront_size: 32
  - .args:
      - .address_space:  global
        .offset:         0
        .size:           8
        .value_kind:     global_buffer
      - .address_space:  global
        .offset:         8
        .size:           8
        .value_kind:     global_buffer
      - .offset:         16
        .size:           4
        .value_kind:     by_value
    .group_segment_fixed_size: 0
    .kernarg_segment_align: 8
    .kernarg_segment_size: 20
    .language:       OpenCL C
    .language_version:
      - 2
      - 0
    .max_flat_workgroup_size: 1024
    .name:           _Z17testOperationsGPUI15HIP_vector_typeIfLj2EES0_IfLj1EEEvPT_S4_i
    .private_segment_fixed_size: 0
    .sgpr_count:     6
    .sgpr_spill_count: 0
    .symbol:         _Z17testOperationsGPUI15HIP_vector_typeIfLj2EES0_IfLj1EEEvPT_S4_i.kd
    .uniform_work_group_size: 1
    .uses_dynamic_stack: false
    .vgpr_count:     3
    .vgpr_spill_count: 0
    .wavefront_size: 32
  - .args:
      - .address_space:  global
        .offset:         0
        .size:           8
        .value_kind:     global_buffer
      - .address_space:  global
        .offset:         8
        .size:           8
        .value_kind:     global_buffer
      - .offset:         16
        .size:           4
        .value_kind:     by_value
    .group_segment_fixed_size: 0
    .kernarg_segment_align: 8
    .kernarg_segment_size: 20
    .language:       OpenCL C
    .language_version:
      - 2
      - 0
    .max_flat_workgroup_size: 1024
    .name:           _Z17testOperationsGPUI15HIP_vector_typeIfLj3EES0_IfLj1EEEvPT_S4_i
    .private_segment_fixed_size: 0
    .sgpr_count:     6
    .sgpr_spill_count: 0
    .symbol:         _Z17testOperationsGPUI15HIP_vector_typeIfLj3EES0_IfLj1EEEvPT_S4_i.kd
    .uniform_work_group_size: 1
    .uses_dynamic_stack: false
    .vgpr_count:     12
    .vgpr_spill_count: 0
    .wavefront_size: 32
  - .args:
      - .address_space:  global
        .offset:         0
        .size:           8
        .value_kind:     global_buffer
      - .address_space:  global
        .offset:         8
        .size:           8
        .value_kind:     global_buffer
      - .offset:         16
        .size:           4
        .value_kind:     by_value
    .group_segment_fixed_size: 0
    .kernarg_segment_align: 8
    .kernarg_segment_size: 20
    .language:       OpenCL C
    .language_version:
      - 2
      - 0
    .max_flat_workgroup_size: 1024
    .name:           _Z17testOperationsGPUI15HIP_vector_typeIfLj4EES0_IfLj1EEEvPT_S4_i
    .private_segment_fixed_size: 0
    .sgpr_count:     6
    .sgpr_spill_count: 0
    .symbol:         _Z17testOperationsGPUI15HIP_vector_typeIfLj4EES0_IfLj1EEEvPT_S4_i.kd
    .uniform_work_group_size: 1
    .uses_dynamic_stack: false
    .vgpr_count:     12
    .vgpr_spill_count: 0
    .wavefront_size: 32
  - .args:
      - .address_space:  global
        .offset:         0
        .size:           8
        .value_kind:     global_buffer
      - .address_space:  global
        .offset:         8
        .size:           8
        .value_kind:     global_buffer
      - .offset:         16
        .size:           4
        .value_kind:     by_value
    .group_segment_fixed_size: 0
    .kernarg_segment_align: 8
    .kernarg_segment_size: 20
    .language:       OpenCL C
    .language_version:
      - 2
      - 0
    .max_flat_workgroup_size: 1024
    .name:           _Z17testOperationsGPUI15HIP_vector_typeIiLj1EES1_EvPT_S3_i
    .private_segment_fixed_size: 0
    .sgpr_count:     6
    .sgpr_spill_count: 0
    .symbol:         _Z17testOperationsGPUI15HIP_vector_typeIiLj1EES1_EvPT_S3_i.kd
    .uniform_work_group_size: 1
    .uses_dynamic_stack: false
    .vgpr_count:     3
    .vgpr_spill_count: 0
    .wavefront_size: 32
  - .args:
      - .address_space:  global
        .offset:         0
        .size:           8
        .value_kind:     global_buffer
      - .address_space:  global
        .offset:         8
        .size:           8
        .value_kind:     global_buffer
      - .offset:         16
        .size:           4
        .value_kind:     by_value
    .group_segment_fixed_size: 0
    .kernarg_segment_align: 8
    .kernarg_segment_size: 20
    .language:       OpenCL C
    .language_version:
      - 2
      - 0
    .max_flat_workgroup_size: 1024
    .name:           _Z17testOperationsGPUI15HIP_vector_typeIiLj2EES0_IiLj1EEEvPT_S4_i
    .private_segment_fixed_size: 0
    .sgpr_count:     6
    .sgpr_spill_count: 0
    .symbol:         _Z17testOperationsGPUI15HIP_vector_typeIiLj2EES0_IiLj1EEEvPT_S4_i.kd
    .uniform_work_group_size: 1
    .uses_dynamic_stack: false
    .vgpr_count:     3
    .vgpr_spill_count: 0
    .wavefront_size: 32
  - .args:
      - .address_space:  global
        .offset:         0
        .size:           8
        .value_kind:     global_buffer
      - .address_space:  global
        .offset:         8
        .size:           8
        .value_kind:     global_buffer
      - .offset:         16
        .size:           4
        .value_kind:     by_value
    .group_segment_fixed_size: 0
    .kernarg_segment_align: 8
    .kernarg_segment_size: 20
    .language:       OpenCL C
    .language_version:
      - 2
      - 0
    .max_flat_workgroup_size: 1024
    .name:           _Z17testOperationsGPUI15HIP_vector_typeIiLj3EES0_IiLj1EEEvPT_S4_i
    .private_segment_fixed_size: 0
    .sgpr_count:     6
    .sgpr_spill_count: 0
    .symbol:         _Z17testOperationsGPUI15HIP_vector_typeIiLj3EES0_IiLj1EEEvPT_S4_i.kd
    .uniform_work_group_size: 1
    .uses_dynamic_stack: false
    .vgpr_count:     12
    .vgpr_spill_count: 0
    .wavefront_size: 32
  - .args:
      - .address_space:  global
        .offset:         0
        .size:           8
        .value_kind:     global_buffer
      - .address_space:  global
        .offset:         8
        .size:           8
        .value_kind:     global_buffer
      - .offset:         16
        .size:           4
        .value_kind:     by_value
    .group_segment_fixed_size: 0
    .kernarg_segment_align: 8
    .kernarg_segment_size: 20
    .language:       OpenCL C
    .language_version:
      - 2
      - 0
    .max_flat_workgroup_size: 1024
    .name:           _Z17testOperationsGPUI15HIP_vector_typeIiLj4EES0_IiLj1EEEvPT_S4_i
    .private_segment_fixed_size: 0
    .sgpr_count:     6
    .sgpr_spill_count: 0
    .symbol:         _Z17testOperationsGPUI15HIP_vector_typeIiLj4EES0_IiLj1EEEvPT_S4_i.kd
    .uniform_work_group_size: 1
    .uses_dynamic_stack: false
    .vgpr_count:     12
    .vgpr_spill_count: 0
    .wavefront_size: 32
  - .args:
      - .address_space:  global
        .offset:         0
        .size:           8
        .value_kind:     global_buffer
      - .address_space:  global
        .offset:         8
        .size:           8
        .value_kind:     global_buffer
      - .offset:         16
        .size:           4
        .value_kind:     by_value
    .group_segment_fixed_size: 0
    .kernarg_segment_align: 8
    .kernarg_segment_size: 20
    .language:       OpenCL C
    .language_version:
      - 2
      - 0
    .max_flat_workgroup_size: 1024
    .name:           _Z17testOperationsGPUI15HIP_vector_typeIcLj1EES1_EvPT_S3_i
    .private_segment_fixed_size: 0
    .sgpr_count:     6
    .sgpr_spill_count: 0
    .symbol:         _Z17testOperationsGPUI15HIP_vector_typeIcLj1EES1_EvPT_S3_i.kd
    .uniform_work_group_size: 1
    .uses_dynamic_stack: false
    .vgpr_count:     3
    .vgpr_spill_count: 0
    .wavefront_size: 32
  - .args:
      - .address_space:  global
        .offset:         0
        .size:           8
        .value_kind:     global_buffer
      - .address_space:  global
        .offset:         8
        .size:           8
        .value_kind:     global_buffer
      - .offset:         16
        .size:           4
        .value_kind:     by_value
    .group_segment_fixed_size: 0
    .kernarg_segment_align: 8
    .kernarg_segment_size: 20
    .language:       OpenCL C
    .language_version:
      - 2
      - 0
    .max_flat_workgroup_size: 1024
    .name:           _Z17testOperationsGPUI15HIP_vector_typeIcLj2EES0_IcLj1EEEvPT_S4_i
    .private_segment_fixed_size: 0
    .sgpr_count:     6
    .sgpr_spill_count: 0
    .symbol:         _Z17testOperationsGPUI15HIP_vector_typeIcLj2EES0_IcLj1EEEvPT_S4_i.kd
    .uniform_work_group_size: 1
    .uses_dynamic_stack: false
    .vgpr_count:     3
    .vgpr_spill_count: 0
    .wavefront_size: 32
  - .args:
      - .address_space:  global
        .offset:         0
        .size:           8
        .value_kind:     global_buffer
      - .address_space:  global
        .offset:         8
        .size:           8
        .value_kind:     global_buffer
      - .offset:         16
        .size:           4
        .value_kind:     by_value
    .group_segment_fixed_size: 0
    .kernarg_segment_align: 8
    .kernarg_segment_size: 20
    .language:       OpenCL C
    .language_version:
      - 2
      - 0
    .max_flat_workgroup_size: 1024
    .name:           _Z17testOperationsGPUI15HIP_vector_typeIcLj3EES0_IcLj1EEEvPT_S4_i
    .private_segment_fixed_size: 0
    .sgpr_count:     6
    .sgpr_spill_count: 0
    .symbol:         _Z17testOperationsGPUI15HIP_vector_typeIcLj3EES0_IcLj1EEEvPT_S4_i.kd
    .uniform_work_group_size: 1
    .uses_dynamic_stack: false
    .vgpr_count:     10
    .vgpr_spill_count: 0
    .wavefront_size: 32
  - .args:
      - .address_space:  global
        .offset:         0
        .size:           8
        .value_kind:     global_buffer
      - .address_space:  global
        .offset:         8
        .size:           8
        .value_kind:     global_buffer
      - .offset:         16
        .size:           4
        .value_kind:     by_value
    .group_segment_fixed_size: 0
    .kernarg_segment_align: 8
    .kernarg_segment_size: 20
    .language:       OpenCL C
    .language_version:
      - 2
      - 0
    .max_flat_workgroup_size: 1024
    .name:           _Z17testOperationsGPUI15HIP_vector_typeIcLj4EES0_IcLj1EEEvPT_S4_i
    .private_segment_fixed_size: 0
    .sgpr_count:     6
    .sgpr_spill_count: 0
    .symbol:         _Z17testOperationsGPUI15HIP_vector_typeIcLj4EES0_IcLj1EEEvPT_S4_i.kd
    .uniform_work_group_size: 1
    .uses_dynamic_stack: false
    .vgpr_count:     10
    .vgpr_spill_count: 0
    .wavefront_size: 32
  - .args:
      - .address_space:  global
        .offset:         0
        .size:           8
        .value_kind:     global_buffer
      - .address_space:  global
        .offset:         8
        .size:           8
        .value_kind:     global_buffer
      - .offset:         16
        .size:           4
        .value_kind:     by_value
    .group_segment_fixed_size: 0
    .kernarg_segment_align: 8
    .kernarg_segment_size: 20
    .language:       OpenCL C
    .language_version:
      - 2
      - 0
    .max_flat_workgroup_size: 1024
    .name:           _Z17testOperationsGPUI15HIP_vector_typeIlLj1EES1_EvPT_S3_i
    .private_segment_fixed_size: 0
    .sgpr_count:     6
    .sgpr_spill_count: 0
    .symbol:         _Z17testOperationsGPUI15HIP_vector_typeIlLj1EES1_EvPT_S3_i.kd
    .uniform_work_group_size: 1
    .uses_dynamic_stack: false
    .vgpr_count:     6
    .vgpr_spill_count: 0
    .wavefront_size: 32
  - .args:
      - .address_space:  global
        .offset:         0
        .size:           8
        .value_kind:     global_buffer
      - .address_space:  global
        .offset:         8
        .size:           8
        .value_kind:     global_buffer
      - .offset:         16
        .size:           4
        .value_kind:     by_value
    .group_segment_fixed_size: 0
    .kernarg_segment_align: 8
    .kernarg_segment_size: 20
    .language:       OpenCL C
    .language_version:
      - 2
      - 0
    .max_flat_workgroup_size: 1024
    .name:           _Z17testOperationsGPUI15HIP_vector_typeIlLj2EES0_IlLj1EEEvPT_S4_i
    .private_segment_fixed_size: 0
    .sgpr_count:     6
    .sgpr_spill_count: 0
    .symbol:         _Z17testOperationsGPUI15HIP_vector_typeIlLj2EES0_IlLj1EEEvPT_S4_i.kd
    .uniform_work_group_size: 1
    .uses_dynamic_stack: false
    .vgpr_count:     5
    .vgpr_spill_count: 0
    .wavefront_size: 32
  - .args:
      - .address_space:  global
        .offset:         0
        .size:           8
        .value_kind:     global_buffer
      - .address_space:  global
        .offset:         8
        .size:           8
        .value_kind:     global_buffer
      - .offset:         16
        .size:           4
        .value_kind:     by_value
    .group_segment_fixed_size: 0
    .kernarg_segment_align: 8
    .kernarg_segment_size: 20
    .language:       OpenCL C
    .language_version:
      - 2
      - 0
    .max_flat_workgroup_size: 1024
    .name:           _Z17testOperationsGPUI15HIP_vector_typeIlLj3EES0_IlLj1EEEvPT_S4_i
    .private_segment_fixed_size: 0
    .sgpr_count:     6
    .sgpr_spill_count: 0
    .symbol:         _Z17testOperationsGPUI15HIP_vector_typeIlLj3EES0_IlLj1EEEvPT_S4_i.kd
    .uniform_work_group_size: 1
    .uses_dynamic_stack: false
    .vgpr_count:     30
    .vgpr_spill_count: 0
    .wavefront_size: 32
  - .args:
      - .address_space:  global
        .offset:         0
        .size:           8
        .value_kind:     global_buffer
      - .address_space:  global
        .offset:         8
        .size:           8
        .value_kind:     global_buffer
      - .offset:         16
        .size:           4
        .value_kind:     by_value
    .group_segment_fixed_size: 0
    .kernarg_segment_align: 8
    .kernarg_segment_size: 20
    .language:       OpenCL C
    .language_version:
      - 2
      - 0
    .max_flat_workgroup_size: 1024
    .name:           _Z17testOperationsGPUI15HIP_vector_typeIlLj4EES0_IlLj1EEEvPT_S4_i
    .private_segment_fixed_size: 0
    .sgpr_count:     6
    .sgpr_spill_count: 0
    .symbol:         _Z17testOperationsGPUI15HIP_vector_typeIlLj4EES0_IlLj1EEEvPT_S4_i.kd
    .uniform_work_group_size: 1
    .uses_dynamic_stack: false
    .vgpr_count:     28
    .vgpr_spill_count: 0
    .wavefront_size: 32
  - .args:
      - .address_space:  global
        .offset:         0
        .size:           8
        .value_kind:     global_buffer
      - .address_space:  global
        .offset:         8
        .size:           8
        .value_kind:     global_buffer
      - .offset:         16
        .size:           4
        .value_kind:     by_value
    .group_segment_fixed_size: 0
    .kernarg_segment_align: 8
    .kernarg_segment_size: 20
    .language:       OpenCL C
    .language_version:
      - 2
      - 0
    .max_flat_workgroup_size: 1024
    .name:           _Z17testOperationsGPUI15HIP_vector_typeIxLj1EES1_EvPT_S3_i
    .private_segment_fixed_size: 0
    .sgpr_count:     6
    .sgpr_spill_count: 0
    .symbol:         _Z17testOperationsGPUI15HIP_vector_typeIxLj1EES1_EvPT_S3_i.kd
    .uniform_work_group_size: 1
    .uses_dynamic_stack: false
    .vgpr_count:     6
    .vgpr_spill_count: 0
    .wavefront_size: 32
  - .args:
      - .address_space:  global
        .offset:         0
        .size:           8
        .value_kind:     global_buffer
      - .address_space:  global
        .offset:         8
        .size:           8
        .value_kind:     global_buffer
      - .offset:         16
        .size:           4
        .value_kind:     by_value
    .group_segment_fixed_size: 0
    .kernarg_segment_align: 8
    .kernarg_segment_size: 20
    .language:       OpenCL C
    .language_version:
      - 2
      - 0
    .max_flat_workgroup_size: 1024
    .name:           _Z17testOperationsGPUI15HIP_vector_typeIxLj2EES0_IxLj1EEEvPT_S4_i
    .private_segment_fixed_size: 0
    .sgpr_count:     6
    .sgpr_spill_count: 0
    .symbol:         _Z17testOperationsGPUI15HIP_vector_typeIxLj2EES0_IxLj1EEEvPT_S4_i.kd
    .uniform_work_group_size: 1
    .uses_dynamic_stack: false
    .vgpr_count:     5
    .vgpr_spill_count: 0
    .wavefront_size: 32
  - .args:
      - .address_space:  global
        .offset:         0
        .size:           8
        .value_kind:     global_buffer
      - .address_space:  global
        .offset:         8
        .size:           8
        .value_kind:     global_buffer
      - .offset:         16
        .size:           4
        .value_kind:     by_value
    .group_segment_fixed_size: 0
    .kernarg_segment_align: 8
    .kernarg_segment_size: 20
    .language:       OpenCL C
    .language_version:
      - 2
      - 0
    .max_flat_workgroup_size: 1024
    .name:           _Z17testOperationsGPUI15HIP_vector_typeIxLj3EES0_IxLj1EEEvPT_S4_i
    .private_segment_fixed_size: 0
    .sgpr_count:     6
    .sgpr_spill_count: 0
    .symbol:         _Z17testOperationsGPUI15HIP_vector_typeIxLj3EES0_IxLj1EEEvPT_S4_i.kd
    .uniform_work_group_size: 1
    .uses_dynamic_stack: false
    .vgpr_count:     30
    .vgpr_spill_count: 0
    .wavefront_size: 32
  - .args:
      - .address_space:  global
        .offset:         0
        .size:           8
        .value_kind:     global_buffer
      - .address_space:  global
        .offset:         8
        .size:           8
        .value_kind:     global_buffer
      - .offset:         16
        .size:           4
        .value_kind:     by_value
    .group_segment_fixed_size: 0
    .kernarg_segment_align: 8
    .kernarg_segment_size: 20
    .language:       OpenCL C
    .language_version:
      - 2
      - 0
    .max_flat_workgroup_size: 1024
    .name:           _Z17testOperationsGPUI15HIP_vector_typeIxLj4EES0_IxLj1EEEvPT_S4_i
    .private_segment_fixed_size: 0
    .sgpr_count:     6
    .sgpr_spill_count: 0
    .symbol:         _Z17testOperationsGPUI15HIP_vector_typeIxLj4EES0_IxLj1EEEvPT_S4_i.kd
    .uniform_work_group_size: 1
    .uses_dynamic_stack: false
    .vgpr_count:     28
    .vgpr_spill_count: 0
    .wavefront_size: 32
  - .args:
      - .address_space:  global
        .offset:         0
        .size:           8
        .value_kind:     global_buffer
      - .address_space:  global
        .offset:         8
        .size:           8
        .value_kind:     global_buffer
      - .offset:         16
        .size:           4
        .value_kind:     by_value
    .group_segment_fixed_size: 0
    .kernarg_segment_align: 8
    .kernarg_segment_size: 20
    .language:       OpenCL C
    .language_version:
      - 2
      - 0
    .max_flat_workgroup_size: 1024
    .name:           _Z17testOperationsGPUI15HIP_vector_typeIsLj1EES1_EvPT_S3_i
    .private_segment_fixed_size: 0
    .sgpr_count:     6
    .sgpr_spill_count: 0
    .symbol:         _Z17testOperationsGPUI15HIP_vector_typeIsLj1EES1_EvPT_S3_i.kd
    .uniform_work_group_size: 1
    .uses_dynamic_stack: false
    .vgpr_count:     3
    .vgpr_spill_count: 0
    .wavefront_size: 32
  - .args:
      - .address_space:  global
        .offset:         0
        .size:           8
        .value_kind:     global_buffer
      - .address_space:  global
        .offset:         8
        .size:           8
        .value_kind:     global_buffer
      - .offset:         16
        .size:           4
        .value_kind:     by_value
    .group_segment_fixed_size: 0
    .kernarg_segment_align: 8
    .kernarg_segment_size: 20
    .language:       OpenCL C
    .language_version:
      - 2
      - 0
    .max_flat_workgroup_size: 1024
    .name:           _Z17testOperationsGPUI15HIP_vector_typeIsLj2EES0_IsLj1EEEvPT_S4_i
    .private_segment_fixed_size: 0
    .sgpr_count:     6
    .sgpr_spill_count: 0
    .symbol:         _Z17testOperationsGPUI15HIP_vector_typeIsLj2EES0_IsLj1EEEvPT_S4_i.kd
    .uniform_work_group_size: 1
    .uses_dynamic_stack: false
    .vgpr_count:     3
    .vgpr_spill_count: 0
    .wavefront_size: 32
  - .args:
      - .address_space:  global
        .offset:         0
        .size:           8
        .value_kind:     global_buffer
      - .address_space:  global
        .offset:         8
        .size:           8
        .value_kind:     global_buffer
      - .offset:         16
        .size:           4
        .value_kind:     by_value
    .group_segment_fixed_size: 0
    .kernarg_segment_align: 8
    .kernarg_segment_size: 20
    .language:       OpenCL C
    .language_version:
      - 2
      - 0
    .max_flat_workgroup_size: 1024
    .name:           _Z17testOperationsGPUI15HIP_vector_typeIsLj3EES0_IsLj1EEEvPT_S4_i
    .private_segment_fixed_size: 0
    .sgpr_count:     6
    .sgpr_spill_count: 0
    .symbol:         _Z17testOperationsGPUI15HIP_vector_typeIsLj3EES0_IsLj1EEEvPT_S4_i.kd
    .uniform_work_group_size: 1
    .uses_dynamic_stack: false
    .vgpr_count:     10
    .vgpr_spill_count: 0
    .wavefront_size: 32
  - .args:
      - .address_space:  global
        .offset:         0
        .size:           8
        .value_kind:     global_buffer
      - .address_space:  global
        .offset:         8
        .size:           8
        .value_kind:     global_buffer
      - .offset:         16
        .size:           4
        .value_kind:     by_value
    .group_segment_fixed_size: 0
    .kernarg_segment_align: 8
    .kernarg_segment_size: 20
    .language:       OpenCL C
    .language_version:
      - 2
      - 0
    .max_flat_workgroup_size: 1024
    .name:           _Z17testOperationsGPUI15HIP_vector_typeIsLj4EES0_IsLj1EEEvPT_S4_i
    .private_segment_fixed_size: 0
    .sgpr_count:     6
    .sgpr_spill_count: 0
    .symbol:         _Z17testOperationsGPUI15HIP_vector_typeIsLj4EES0_IsLj1EEEvPT_S4_i.kd
    .uniform_work_group_size: 1
    .uses_dynamic_stack: false
    .vgpr_count:     10
    .vgpr_spill_count: 0
    .wavefront_size: 32
  - .args:
      - .address_space:  global
        .offset:         0
        .size:           8
        .value_kind:     global_buffer
      - .address_space:  global
        .offset:         8
        .size:           8
        .value_kind:     global_buffer
      - .offset:         16
        .size:           4
        .value_kind:     by_value
    .group_segment_fixed_size: 0
    .kernarg_segment_align: 8
    .kernarg_segment_size: 20
    .language:       OpenCL C
    .language_version:
      - 2
      - 0
    .max_flat_workgroup_size: 1024
    .name:           _Z17testOperationsGPUI15HIP_vector_typeIjLj1EES1_EvPT_S3_i
    .private_segment_fixed_size: 0
    .sgpr_count:     6
    .sgpr_spill_count: 0
    .symbol:         _Z17testOperationsGPUI15HIP_vector_typeIjLj1EES1_EvPT_S3_i.kd
    .uniform_work_group_size: 1
    .uses_dynamic_stack: false
    .vgpr_count:     3
    .vgpr_spill_count: 0
    .wavefront_size: 32
  - .args:
      - .address_space:  global
        .offset:         0
        .size:           8
        .value_kind:     global_buffer
      - .address_space:  global
        .offset:         8
        .size:           8
        .value_kind:     global_buffer
      - .offset:         16
        .size:           4
        .value_kind:     by_value
    .group_segment_fixed_size: 0
    .kernarg_segment_align: 8
    .kernarg_segment_size: 20
    .language:       OpenCL C
    .language_version:
      - 2
      - 0
    .max_flat_workgroup_size: 1024
    .name:           _Z17testOperationsGPUI15HIP_vector_typeIjLj2EES0_IjLj1EEEvPT_S4_i
    .private_segment_fixed_size: 0
    .sgpr_count:     6
    .sgpr_spill_count: 0
    .symbol:         _Z17testOperationsGPUI15HIP_vector_typeIjLj2EES0_IjLj1EEEvPT_S4_i.kd
    .uniform_work_group_size: 1
    .uses_dynamic_stack: false
    .vgpr_count:     3
    .vgpr_spill_count: 0
    .wavefront_size: 32
  - .args:
      - .address_space:  global
        .offset:         0
        .size:           8
        .value_kind:     global_buffer
      - .address_space:  global
        .offset:         8
        .size:           8
        .value_kind:     global_buffer
      - .offset:         16
        .size:           4
        .value_kind:     by_value
    .group_segment_fixed_size: 0
    .kernarg_segment_align: 8
    .kernarg_segment_size: 20
    .language:       OpenCL C
    .language_version:
      - 2
      - 0
    .max_flat_workgroup_size: 1024
    .name:           _Z17testOperationsGPUI15HIP_vector_typeIjLj3EES0_IjLj1EEEvPT_S4_i
    .private_segment_fixed_size: 0
    .sgpr_count:     6
    .sgpr_spill_count: 0
    .symbol:         _Z17testOperationsGPUI15HIP_vector_typeIjLj3EES0_IjLj1EEEvPT_S4_i.kd
    .uniform_work_group_size: 1
    .uses_dynamic_stack: false
    .vgpr_count:     10
    .vgpr_spill_count: 0
    .wavefront_size: 32
  - .args:
      - .address_space:  global
        .offset:         0
        .size:           8
        .value_kind:     global_buffer
      - .address_space:  global
        .offset:         8
        .size:           8
        .value_kind:     global_buffer
      - .offset:         16
        .size:           4
        .value_kind:     by_value
    .group_segment_fixed_size: 0
    .kernarg_segment_align: 8
    .kernarg_segment_size: 20
    .language:       OpenCL C
    .language_version:
      - 2
      - 0
    .max_flat_workgroup_size: 1024
    .name:           _Z17testOperationsGPUI15HIP_vector_typeIjLj4EES0_IjLj1EEEvPT_S4_i
    .private_segment_fixed_size: 0
    .sgpr_count:     6
    .sgpr_spill_count: 0
    .symbol:         _Z17testOperationsGPUI15HIP_vector_typeIjLj4EES0_IjLj1EEEvPT_S4_i.kd
    .uniform_work_group_size: 1
    .uses_dynamic_stack: false
    .vgpr_count:     10
    .vgpr_spill_count: 0
    .wavefront_size: 32
  - .args:
      - .address_space:  global
        .offset:         0
        .size:           8
        .value_kind:     global_buffer
      - .address_space:  global
        .offset:         8
        .size:           8
        .value_kind:     global_buffer
      - .offset:         16
        .size:           4
        .value_kind:     by_value
    .group_segment_fixed_size: 0
    .kernarg_segment_align: 8
    .kernarg_segment_size: 20
    .language:       OpenCL C
    .language_version:
      - 2
      - 0
    .max_flat_workgroup_size: 1024
    .name:           _Z17testOperationsGPUI15HIP_vector_typeIhLj1EES1_EvPT_S3_i
    .private_segment_fixed_size: 0
    .sgpr_count:     6
    .sgpr_spill_count: 0
    .symbol:         _Z17testOperationsGPUI15HIP_vector_typeIhLj1EES1_EvPT_S3_i.kd
    .uniform_work_group_size: 1
    .uses_dynamic_stack: false
    .vgpr_count:     3
    .vgpr_spill_count: 0
    .wavefront_size: 32
  - .args:
      - .address_space:  global
        .offset:         0
        .size:           8
        .value_kind:     global_buffer
      - .address_space:  global
        .offset:         8
        .size:           8
        .value_kind:     global_buffer
      - .offset:         16
        .size:           4
        .value_kind:     by_value
    .group_segment_fixed_size: 0
    .kernarg_segment_align: 8
    .kernarg_segment_size: 20
    .language:       OpenCL C
    .language_version:
      - 2
      - 0
    .max_flat_workgroup_size: 1024
    .name:           _Z17testOperationsGPUI15HIP_vector_typeIhLj2EES0_IhLj1EEEvPT_S4_i
    .private_segment_fixed_size: 0
    .sgpr_count:     6
    .sgpr_spill_count: 0
    .symbol:         _Z17testOperationsGPUI15HIP_vector_typeIhLj2EES0_IhLj1EEEvPT_S4_i.kd
    .uniform_work_group_size: 1
    .uses_dynamic_stack: false
    .vgpr_count:     3
    .vgpr_spill_count: 0
    .wavefront_size: 32
  - .args:
      - .address_space:  global
        .offset:         0
        .size:           8
        .value_kind:     global_buffer
      - .address_space:  global
        .offset:         8
        .size:           8
        .value_kind:     global_buffer
      - .offset:         16
        .size:           4
        .value_kind:     by_value
    .group_segment_fixed_size: 0
    .kernarg_segment_align: 8
    .kernarg_segment_size: 20
    .language:       OpenCL C
    .language_version:
      - 2
      - 0
    .max_flat_workgroup_size: 1024
    .name:           _Z17testOperationsGPUI15HIP_vector_typeIhLj3EES0_IhLj1EEEvPT_S4_i
    .private_segment_fixed_size: 0
    .sgpr_count:     6
    .sgpr_spill_count: 0
    .symbol:         _Z17testOperationsGPUI15HIP_vector_typeIhLj3EES0_IhLj1EEEvPT_S4_i.kd
    .uniform_work_group_size: 1
    .uses_dynamic_stack: false
    .vgpr_count:     8
    .vgpr_spill_count: 0
    .wavefront_size: 32
  - .args:
      - .address_space:  global
        .offset:         0
        .size:           8
        .value_kind:     global_buffer
      - .address_space:  global
        .offset:         8
        .size:           8
        .value_kind:     global_buffer
      - .offset:         16
        .size:           4
        .value_kind:     by_value
    .group_segment_fixed_size: 0
    .kernarg_segment_align: 8
    .kernarg_segment_size: 20
    .language:       OpenCL C
    .language_version:
      - 2
      - 0
    .max_flat_workgroup_size: 1024
    .name:           _Z17testOperationsGPUI15HIP_vector_typeIhLj4EES0_IhLj1EEEvPT_S4_i
    .private_segment_fixed_size: 0
    .sgpr_count:     6
    .sgpr_spill_count: 0
    .symbol:         _Z17testOperationsGPUI15HIP_vector_typeIhLj4EES0_IhLj1EEEvPT_S4_i.kd
    .uniform_work_group_size: 1
    .uses_dynamic_stack: false
    .vgpr_count:     9
    .vgpr_spill_count: 0
    .wavefront_size: 32
  - .args:
      - .address_space:  global
        .offset:         0
        .size:           8
        .value_kind:     global_buffer
      - .address_space:  global
        .offset:         8
        .size:           8
        .value_kind:     global_buffer
      - .offset:         16
        .size:           4
        .value_kind:     by_value
    .group_segment_fixed_size: 0
    .kernarg_segment_align: 8
    .kernarg_segment_size: 20
    .language:       OpenCL C
    .language_version:
      - 2
      - 0
    .max_flat_workgroup_size: 1024
    .name:           _Z17testOperationsGPUI15HIP_vector_typeImLj1EES1_EvPT_S3_i
    .private_segment_fixed_size: 0
    .sgpr_count:     6
    .sgpr_spill_count: 0
    .symbol:         _Z17testOperationsGPUI15HIP_vector_typeImLj1EES1_EvPT_S3_i.kd
    .uniform_work_group_size: 1
    .uses_dynamic_stack: false
    .vgpr_count:     6
    .vgpr_spill_count: 0
    .wavefront_size: 32
  - .args:
      - .address_space:  global
        .offset:         0
        .size:           8
        .value_kind:     global_buffer
      - .address_space:  global
        .offset:         8
        .size:           8
        .value_kind:     global_buffer
      - .offset:         16
        .size:           4
        .value_kind:     by_value
    .group_segment_fixed_size: 0
    .kernarg_segment_align: 8
    .kernarg_segment_size: 20
    .language:       OpenCL C
    .language_version:
      - 2
      - 0
    .max_flat_workgroup_size: 1024
    .name:           _Z17testOperationsGPUI15HIP_vector_typeImLj2EES0_ImLj1EEEvPT_S4_i
    .private_segment_fixed_size: 0
    .sgpr_count:     6
    .sgpr_spill_count: 0
    .symbol:         _Z17testOperationsGPUI15HIP_vector_typeImLj2EES0_ImLj1EEEvPT_S4_i.kd
    .uniform_work_group_size: 1
    .uses_dynamic_stack: false
    .vgpr_count:     5
    .vgpr_spill_count: 0
    .wavefront_size: 32
  - .args:
      - .address_space:  global
        .offset:         0
        .size:           8
        .value_kind:     global_buffer
      - .address_space:  global
        .offset:         8
        .size:           8
        .value_kind:     global_buffer
      - .offset:         16
        .size:           4
        .value_kind:     by_value
    .group_segment_fixed_size: 0
    .kernarg_segment_align: 8
    .kernarg_segment_size: 20
    .language:       OpenCL C
    .language_version:
      - 2
      - 0
    .max_flat_workgroup_size: 1024
    .name:           _Z17testOperationsGPUI15HIP_vector_typeImLj3EES0_ImLj1EEEvPT_S4_i
    .private_segment_fixed_size: 0
    .sgpr_count:     6
    .sgpr_spill_count: 0
    .symbol:         _Z17testOperationsGPUI15HIP_vector_typeImLj3EES0_ImLj1EEEvPT_S4_i.kd
    .uniform_work_group_size: 1
    .uses_dynamic_stack: false
    .vgpr_count:     28
    .vgpr_spill_count: 0
    .wavefront_size: 32
  - .args:
      - .address_space:  global
        .offset:         0
        .size:           8
        .value_kind:     global_buffer
      - .address_space:  global
        .offset:         8
        .size:           8
        .value_kind:     global_buffer
      - .offset:         16
        .size:           4
        .value_kind:     by_value
    .group_segment_fixed_size: 0
    .kernarg_segment_align: 8
    .kernarg_segment_size: 20
    .language:       OpenCL C
    .language_version:
      - 2
      - 0
    .max_flat_workgroup_size: 1024
    .name:           _Z17testOperationsGPUI15HIP_vector_typeImLj4EES0_ImLj1EEEvPT_S4_i
    .private_segment_fixed_size: 0
    .sgpr_count:     6
    .sgpr_spill_count: 0
    .symbol:         _Z17testOperationsGPUI15HIP_vector_typeImLj4EES0_ImLj1EEEvPT_S4_i.kd
    .uniform_work_group_size: 1
    .uses_dynamic_stack: false
    .vgpr_count:     26
    .vgpr_spill_count: 0
    .wavefront_size: 32
  - .args:
      - .address_space:  global
        .offset:         0
        .size:           8
        .value_kind:     global_buffer
      - .address_space:  global
        .offset:         8
        .size:           8
        .value_kind:     global_buffer
      - .offset:         16
        .size:           4
        .value_kind:     by_value
    .group_segment_fixed_size: 0
    .kernarg_segment_align: 8
    .kernarg_segment_size: 20
    .language:       OpenCL C
    .language_version:
      - 2
      - 0
    .max_flat_workgroup_size: 1024
    .name:           _Z17testOperationsGPUI15HIP_vector_typeIyLj1EES1_EvPT_S3_i
    .private_segment_fixed_size: 0
    .sgpr_count:     6
    .sgpr_spill_count: 0
    .symbol:         _Z17testOperationsGPUI15HIP_vector_typeIyLj1EES1_EvPT_S3_i.kd
    .uniform_work_group_size: 1
    .uses_dynamic_stack: false
    .vgpr_count:     6
    .vgpr_spill_count: 0
    .wavefront_size: 32
  - .args:
      - .address_space:  global
        .offset:         0
        .size:           8
        .value_kind:     global_buffer
      - .address_space:  global
        .offset:         8
        .size:           8
        .value_kind:     global_buffer
      - .offset:         16
        .size:           4
        .value_kind:     by_value
    .group_segment_fixed_size: 0
    .kernarg_segment_align: 8
    .kernarg_segment_size: 20
    .language:       OpenCL C
    .language_version:
      - 2
      - 0
    .max_flat_workgroup_size: 1024
    .name:           _Z17testOperationsGPUI15HIP_vector_typeIyLj2EES0_IyLj1EEEvPT_S4_i
    .private_segment_fixed_size: 0
    .sgpr_count:     6
    .sgpr_spill_count: 0
    .symbol:         _Z17testOperationsGPUI15HIP_vector_typeIyLj2EES0_IyLj1EEEvPT_S4_i.kd
    .uniform_work_group_size: 1
    .uses_dynamic_stack: false
    .vgpr_count:     5
    .vgpr_spill_count: 0
    .wavefront_size: 32
  - .args:
      - .address_space:  global
        .offset:         0
        .size:           8
        .value_kind:     global_buffer
      - .address_space:  global
        .offset:         8
        .size:           8
        .value_kind:     global_buffer
      - .offset:         16
        .size:           4
        .value_kind:     by_value
    .group_segment_fixed_size: 0
    .kernarg_segment_align: 8
    .kernarg_segment_size: 20
    .language:       OpenCL C
    .language_version:
      - 2
      - 0
    .max_flat_workgroup_size: 1024
    .name:           _Z17testOperationsGPUI15HIP_vector_typeIyLj3EES0_IyLj1EEEvPT_S4_i
    .private_segment_fixed_size: 0
    .sgpr_count:     6
    .sgpr_spill_count: 0
    .symbol:         _Z17testOperationsGPUI15HIP_vector_typeIyLj3EES0_IyLj1EEEvPT_S4_i.kd
    .uniform_work_group_size: 1
    .uses_dynamic_stack: false
    .vgpr_count:     28
    .vgpr_spill_count: 0
    .wavefront_size: 32
  - .args:
      - .address_space:  global
        .offset:         0
        .size:           8
        .value_kind:     global_buffer
      - .address_space:  global
        .offset:         8
        .size:           8
        .value_kind:     global_buffer
      - .offset:         16
        .size:           4
        .value_kind:     by_value
    .group_segment_fixed_size: 0
    .kernarg_segment_align: 8
    .kernarg_segment_size: 20
    .language:       OpenCL C
    .language_version:
      - 2
      - 0
    .max_flat_workgroup_size: 1024
    .name:           _Z17testOperationsGPUI15HIP_vector_typeIyLj4EES0_IyLj1EEEvPT_S4_i
    .private_segment_fixed_size: 0
    .sgpr_count:     6
    .sgpr_spill_count: 0
    .symbol:         _Z17testOperationsGPUI15HIP_vector_typeIyLj4EES0_IyLj1EEEvPT_S4_i.kd
    .uniform_work_group_size: 1
    .uses_dynamic_stack: false
    .vgpr_count:     26
    .vgpr_spill_count: 0
    .wavefront_size: 32
  - .args:
      - .address_space:  global
        .offset:         0
        .size:           8
        .value_kind:     global_buffer
      - .address_space:  global
        .offset:         8
        .size:           8
        .value_kind:     global_buffer
      - .offset:         16
        .size:           4
        .value_kind:     by_value
    .group_segment_fixed_size: 0
    .kernarg_segment_align: 8
    .kernarg_segment_size: 20
    .language:       OpenCL C
    .language_version:
      - 2
      - 0
    .max_flat_workgroup_size: 1024
    .name:           _Z17testOperationsGPUI15HIP_vector_typeItLj1EES1_EvPT_S3_i
    .private_segment_fixed_size: 0
    .sgpr_count:     6
    .sgpr_spill_count: 0
    .symbol:         _Z17testOperationsGPUI15HIP_vector_typeItLj1EES1_EvPT_S3_i.kd
    .uniform_work_group_size: 1
    .uses_dynamic_stack: false
    .vgpr_count:     3
    .vgpr_spill_count: 0
    .wavefront_size: 32
  - .args:
      - .address_space:  global
        .offset:         0
        .size:           8
        .value_kind:     global_buffer
      - .address_space:  global
        .offset:         8
        .size:           8
        .value_kind:     global_buffer
      - .offset:         16
        .size:           4
        .value_kind:     by_value
    .group_segment_fixed_size: 0
    .kernarg_segment_align: 8
    .kernarg_segment_size: 20
    .language:       OpenCL C
    .language_version:
      - 2
      - 0
    .max_flat_workgroup_size: 1024
    .name:           _Z17testOperationsGPUI15HIP_vector_typeItLj2EES0_ItLj1EEEvPT_S4_i
    .private_segment_fixed_size: 0
    .sgpr_count:     6
    .sgpr_spill_count: 0
    .symbol:         _Z17testOperationsGPUI15HIP_vector_typeItLj2EES0_ItLj1EEEvPT_S4_i.kd
    .uniform_work_group_size: 1
    .uses_dynamic_stack: false
    .vgpr_count:     3
    .vgpr_spill_count: 0
    .wavefront_size: 32
  - .args:
      - .address_space:  global
        .offset:         0
        .size:           8
        .value_kind:     global_buffer
      - .address_space:  global
        .offset:         8
        .size:           8
        .value_kind:     global_buffer
      - .offset:         16
        .size:           4
        .value_kind:     by_value
    .group_segment_fixed_size: 0
    .kernarg_segment_align: 8
    .kernarg_segment_size: 20
    .language:       OpenCL C
    .language_version:
      - 2
      - 0
    .max_flat_workgroup_size: 1024
    .name:           _Z17testOperationsGPUI15HIP_vector_typeItLj3EES0_ItLj1EEEvPT_S4_i
    .private_segment_fixed_size: 0
    .sgpr_count:     6
    .sgpr_spill_count: 0
    .symbol:         _Z17testOperationsGPUI15HIP_vector_typeItLj3EES0_ItLj1EEEvPT_S4_i.kd
    .uniform_work_group_size: 1
    .uses_dynamic_stack: false
    .vgpr_count:     8
    .vgpr_spill_count: 0
    .wavefront_size: 32
  - .args:
      - .address_space:  global
        .offset:         0
        .size:           8
        .value_kind:     global_buffer
      - .address_space:  global
        .offset:         8
        .size:           8
        .value_kind:     global_buffer
      - .offset:         16
        .size:           4
        .value_kind:     by_value
    .group_segment_fixed_size: 0
    .kernarg_segment_align: 8
    .kernarg_segment_size: 20
    .language:       OpenCL C
    .language_version:
      - 2
      - 0
    .max_flat_workgroup_size: 1024
    .name:           _Z17testOperationsGPUI15HIP_vector_typeItLj4EES0_ItLj1EEEvPT_S4_i
    .private_segment_fixed_size: 0
    .sgpr_count:     6
    .sgpr_spill_count: 0
    .symbol:         _Z17testOperationsGPUI15HIP_vector_typeItLj4EES0_ItLj1EEEvPT_S4_i.kd
    .uniform_work_group_size: 1
    .uses_dynamic_stack: false
    .vgpr_count:     9
    .vgpr_spill_count: 0
    .wavefront_size: 32
amdhsa.target:   amdgcn-amd-amdhsa--gfx1250
amdhsa.version:
  - 1
  - 2
...

	.end_amdgpu_metadata
